;; amdgpu-corpus repo=ROCm/aiter kind=harvested arch=n/a opt=n/a

/root/src/amdgpu-assembly/repos/ROCm__aiter/hsa/gfx950/fmha_v3_bwd/bwd_hd64_bf16_causal_a16_rtz.co:	file format elf64-amdgpu

Disassembly of section .text:

0000000000004000 <_ZN5aiter43fmha_bwd_hd64_bf16_causal_a16_rtz_recompileE>:
	s_and_b32 s1, s1, 0xffff                                   // 000000004000: 8601FF01 0000FFFF
	s_load_dwordx2 s[32:33], s[0:1], 0x0                       // 000000004008: C0060800 00000000
	s_load_dwordx2 s[36:37], s[0:1], 0x10                      // 000000004010: C0060900 00000010
	s_load_dwordx2 s[40:41], s[0:1], 0x20                      // 000000004018: C0060A00 00000020
	s_load_dwordx2 s[8:9], s[0:1], 0x30                        // 000000004020: C0060200 00000030
	s_load_dwordx2 s[12:13], s[0:1], 0x40                      // 000000004028: C0060300 00000040
	s_load_dwordx2 s[16:17], s[0:1], 0x50                      // 000000004030: C0060400 00000050
	s_load_dwordx2 s[20:21], s[0:1], 0x60                      // 000000004038: C0060500 00000060
	s_load_dwordx2 s[24:25], s[0:1], 0x70                      // 000000004040: C0060600 00000070
	s_load_dwordx2 s[28:29], s[0:1], 0x80                      // 000000004048: C0060700 00000080
	s_load_dword s48, s[0:1], 0x90                             // 000000004050: C0020C00 00000090
	s_load_dword s49, s[0:1], 0xa0                             // 000000004058: C0020C40 000000A0
	s_load_dword s50, s[0:1], 0xb0                             // 000000004060: C0020C80 000000B0
	s_load_dword s51, s[0:1], 0xc0                             // 000000004068: C0020CC0 000000C0
	s_load_dword s52, s[0:1], 0xd0                             // 000000004070: C0020D00 000000D0
	s_load_dword s53, s[0:1], 0xe0                             // 000000004078: C0020D40 000000E0
	s_load_dword s70, s[0:1], 0xf0                             // 000000004080: C0021180 000000F0
	s_load_dword s44, s[0:1], 0x100                            // 000000004088: C0020B00 00000100
	s_load_dword s5, s[0:1], 0x110                             // 000000004090: C0020140 00000110
	s_load_dword s6, s[0:1], 0x120                             // 000000004098: C0020180 00000120
	s_load_dword s7, s[0:1], 0x130                             // 0000000040A0: C00201C0 00000130
	s_load_dword s46, s[0:1], 0x140                            // 0000000040A8: C0020B80 00000140
	s_load_dword s93, s[0:1], 0x180                            // 0000000040B0: C0021740 00000180
	s_load_dword s92, s[0:1], 0x240                            // 0000000040B8: C0021700 00000240
	v_lshrrev_b32_e32 v1, 10, v0                               // 0000000040C0: 2002008A
	v_lshrrev_b32_e32 v2, 10, v1                               // 0000000040C4: 2004028A
	v_and_b32_e32 v2, 0x3ff, v2                                // 0000000040C8: 260404FF 000003FF
	v_and_b32_e32 v1, 0x3ff, v1                                // 0000000040D0: 260202FF 000003FF
	v_and_b32_e32 v0, 0x3ff, v0                                // 0000000040D8: 260000FF 000003FF
	v_lshrrev_b32_e32 v3, 6, v0                                // 0000000040E0: 20060086
	v_and_b32_e32 v0, 63, v0                                   // 0000000040E4: 260000BF
	s_mov_b32 s2, s2                                           // 0000000040E8: BE820002
	s_mov_b32 s3, s3                                           // 0000000040EC: BE830003
	s_mov_b32 s4, s4                                           // 0000000040F0: BE840004
	v_readfirstlane_b32 s47, v3                                // 0000000040F4: 7E5E0503
	s_waitcnt lgkmcnt(0)                                       // 0000000040F8: BF8CC07F
	s_mov_b32 s10, 0x80000000                                  // 0000000040FC: BE8A00FF 80000000
	s_mov_b32 s14, 0x80000000                                  // 000000004104: BE8E00FF 80000000
	s_mov_b32 s18, 0x80000000                                  // 00000000410C: BE9200FF 80000000
	s_mov_b32 s22, 0x80000000                                  // 000000004114: BE9600FF 80000000
	s_mov_b32 s26, 0x80000000                                  // 00000000411C: BE9A00FF 80000000
	s_mov_b32 s30, 0x80000000                                  // 000000004124: BE9E00FF 80000000
	s_mov_b32 s38, 0x80000000                                  // 00000000412C: BEA600FF 80000000
	s_mov_b32 s42, 0x80000000                                  // 000000004134: BEAA00FF 80000000
	s_mov_b32 s11, 0x20000                                     // 00000000413C: BE8B00FF 00020000
	s_mov_b32 s15, 0x20000                                     // 000000004144: BE8F00FF 00020000
	s_mov_b32 s19, 0x20000                                     // 00000000414C: BE9300FF 00020000
	s_mov_b32 s23, 0x20000                                     // 000000004154: BE9700FF 00020000
	s_mov_b32 s27, 0x20000                                     // 00000000415C: BE9B00FF 00020000
	s_mov_b32 s31, 0x20000                                     // 000000004164: BE9F00FF 00020000
	s_mov_b32 s39, 0x20000                                     // 00000000416C: BEA700FF 00020000
	s_mov_b32 s43, 0x20000                                     // 000000004174: BEAB00FF 00020000
	s_and_b32 s9, s9, 0xffff                                   // 00000000417C: 8609FF09 0000FFFF
	s_and_b32 s13, s13, 0xffff                                 // 000000004184: 860DFF0D 0000FFFF
	s_and_b32 s17, s17, 0xffff                                 // 00000000418C: 8611FF11 0000FFFF
	s_and_b32 s21, s21, 0xffff                                 // 000000004194: 8615FF15 0000FFFF
	s_and_b32 s25, s25, 0xffff                                 // 00000000419C: 8619FF19 0000FFFF
	s_and_b32 s29, s29, 0xffff                                 // 0000000041A4: 861DFF1D 0000FFFF
	s_and_b32 s37, s37, 0xffff                                 // 0000000041AC: 8625FF25 0000FFFF
	s_and_b32 s41, s41, 0xffff                                 // 0000000041B4: 8629FF29 0000FFFF
	s_or_b32 s9, s9, 0x40000                                   // 0000000041BC: 8709FF09 00040000
	s_or_b32 s13, s13, 0x40000                                 // 0000000041C4: 870DFF0D 00040000
	s_or_b32 s17, s17, 0x40000                                 // 0000000041CC: 8711FF11 00040000
	s_or_b32 s21, s21, 0x40000                                 // 0000000041D4: 8715FF15 00040000
	s_or_b32 s25, s25, 0x40000                                 // 0000000041DC: 8719FF19 00040000
	s_or_b32 s29, s29, 0x40000                                 // 0000000041E4: 871DFF1D 00040000
	s_or_b32 s37, s37, 0x40000                                 // 0000000041EC: 8725FF25 00040000
	s_or_b32 s41, s41, 0x40000                                 // 0000000041F4: 8729FF29 00040000
	v_accvgpr_write_b32 a159, 0                                // 0000000041FC: D3D9409F 18000080
	v_mov_b32_e32 v231, 0                                      // 000000004204: 7FCE0280
	s_mov_b32 s82, s8                                          // 000000004208: BED20008
	s_mov_b32 s84, s12                                         // 00000000420C: BED4000C
	s_mov_b32 s86, s16                                         // 000000004210: BED60010
	s_mov_b32 s88, s20                                         // 000000004214: BED80014
	s_mov_b32 s90, s32                                         // 000000004218: BEDA0020
	s_mov_b32 s83, s9                                          // 00000000421C: BED30009
	s_mov_b32 s85, s13                                         // 000000004220: BED5000D
	s_mov_b32 s87, s17                                         // 000000004224: BED70011
	s_mov_b32 s89, s21                                         // 000000004228: BED90015
	s_mov_b32 s91, s33                                         // 00000000422C: BEDB0021
	s_mov_b32 s71, s3                                          // 000000004230: BEC70003
	v_cvt_f32_u32_e32 v32, s44                                 // 000000004234: 7E400C2C
	s_sub_i32 s60, 0, s44                                      // 000000004238: 81BC2C80
	v_rcp_iflag_f32_e32 v32, v32                               // 00000000423C: 7E404720
	s_nop 0                                                    // 000000004240: BF800000
	v_mul_f32_e32 v32, 0x4f7ffffe, v32                         // 000000004244: 0A4040FF 4F7FFFFE
	v_cvt_u32_f32_e32 v32, v32                                 // 00000000424C: 7E400F20
	v_mul_lo_u32 v33, s60, v32                                 // 000000004250: D2850021 0002403C
	v_mul_hi_u32 v33, v32, v33                                 // 000000004258: D2860021 00024320
	v_add_u32_e32 v32, v32, v33                                // 000000004260: 68404320
	v_mul_hi_u32 v32, s71, v32                                 // 000000004264: D2860020 00024047
	v_mul_lo_u32 v33, v32, s44                                 // 00000000426C: D2850021 00005920
	v_sub_u32_e32 v35, s71, v33                                // 000000004274: 6A464247
	v_add_u32_e32 v34, 1, v32                                  // 000000004278: 68444081
	v_cmp_le_u32_e32 vcc, s44, v35                             // 00000000427C: 7D96462C
	v_subrev_u32_e32 v33, s44, v35                             // 000000004280: 6C42462C
	s_nop 0                                                    // 000000004284: BF800000
	v_cndmask_b32_e32 v32, v32, v34, vcc                       // 000000004288: 00404520
	v_cndmask_b32_e32 v35, v35, v33, vcc                       // 00000000428C: 00464323
	v_add_u32_e32 v33, 1, v32                                  // 000000004290: 68424081
	v_cmp_le_u32_e32 vcc, s44, v35                             // 000000004294: 7D96462C
	s_nop 1                                                    // 000000004298: BF800001
	v_cndmask_b32_e32 v35, v32, v33, vcc                       // 00000000429C: 00464320
	s_nop 3                                                    // 0000000042A0: BF800003
	v_readfirstlane_b32 s45, v35                               // 0000000042A4: 7E5A0523
	s_nop 3                                                    // 0000000042A8: BF800003
	s_add_u32 s71, 0x80, s50                                   // 0000000042AC: 804732FF 00000080
	s_mov_b32 s74, 0xc0                                        // 0000000042B4: BECA00FF 000000C0
	v_cvt_f32_u32_e32 v32, s74                                 // 0000000042BC: 7E400C4A
	s_sub_i32 s60, 0, s74                                      // 0000000042C0: 81BC4A80
	v_rcp_iflag_f32_e32 v32, v32                               // 0000000042C4: 7E404720
	s_nop 0                                                    // 0000000042C8: BF800000
	v_mul_f32_e32 v32, 0x4f7ffffe, v32                         // 0000000042CC: 0A4040FF 4F7FFFFE
	v_cvt_u32_f32_e32 v32, v32                                 // 0000000042D4: 7E400F20
	v_mul_lo_u32 v33, s60, v32                                 // 0000000042D8: D2850021 0002403C
	v_mul_hi_u32 v33, v32, v33                                 // 0000000042E0: D2860021 00024320
	v_add_u32_e32 v32, v32, v33                                // 0000000042E8: 68404320
	v_mul_hi_u32 v32, s71, v32                                 // 0000000042EC: D2860020 00024047
	v_mul_lo_u32 v33, v32, s74                                 // 0000000042F4: D2850021 00009520
	v_sub_u32_e32 v35, s71, v33                                // 0000000042FC: 6A464247
	v_add_u32_e32 v34, 1, v32                                  // 000000004300: 68444081
	v_cmp_le_u32_e32 vcc, s74, v35                             // 000000004304: 7D96464A
	v_subrev_u32_e32 v33, s74, v35                             // 000000004308: 6C42464A
	s_nop 0                                                    // 00000000430C: BF800000
	v_cndmask_b32_e32 v32, v32, v34, vcc                       // 000000004310: 00404520
	v_cndmask_b32_e32 v35, v35, v33, vcc                       // 000000004314: 00464323
	v_add_u32_e32 v33, 1, v32                                  // 000000004318: 68424081
	v_cmp_le_u32_e32 vcc, s74, v35                             // 00000000431C: 7D96464A
	s_nop 1                                                    // 000000004320: BF800001
	v_cndmask_b32_e32 v35, v32, v33, vcc                       // 000000004324: 00464320
	s_nop 3                                                    // 000000004328: BF800003
	v_readfirstlane_b32 s77, v35                               // 00000000432C: 7E9A0523
	s_nop 3                                                    // 000000004330: BF800003
	v_mov_b32_e32 v32, s48                                     // 000000004334: 7E400230
	v_mul_f32_e32 v32, s49, v32                                // 000000004338: 0A404031
	s_mov_b32 s66, 0                                           // 00000000433C: BEC20080
	s_mov_b32 s58, s50                                         // 000000004340: BEBA0032
	s_mov_b32 s59, 0                                           // 000000004344: BEBB0080
	s_mov_b32 s63, 0x5040100                                   // 000000004348: BEBF00FF 05040100
	s_mov_b32 s64, 0x7060302                                   // 000000004350: BEC000FF 07060302
	v_readfirstlane_b32 s57, v32                               // 000000004358: 7E720520
	v_mov_b32_e32 v34, 0x3020706                               // 00000000435C: 7E4402FF 03020706
	v_mov_b32_e32 v32, s63                                     // 000000004364: 7E40023F
	v_and_b32_e32 v33, 1, v0                                   // 000000004368: 26420081
	v_cmp_eq_u32_e32 vcc, 1, v33                               // 00000000436C: 7D944281
	s_mul_i32 s67, 32, s70                                     // 000000004370: 924346A0
	v_cndmask_b32_e32 v21, v32, v34, vcc                       // 000000004374: 002A4520
	v_mov_b32_e32 v229, 0xffff0000                             // 000000004378: 7FCA02FF FFFF0000
	v_mov_b32_e32 v230, 0x7fff0000                             // 000000004380: 7FCC02FF 7FFF0000
	v_mov_b32_e32 v231, 0x7fff                                 // 000000004388: 7FCE02FF 00007FFF
	s_cmp_lt_u32 s47, 2                                        // 000000004390: BF0A822F
	s_cselect_b32 s24, s24, s28                                // 000000004394: 85181C18
	s_cselect_b32 s25, s25, s29                                // 000000004398: 85191D19
	s_cselect_b32 s26, s26, s30                                // 00000000439C: 851A1E1A
	s_cselect_b32 s27, s27, s31                                // 0000000043A0: 851B1F1B
	s_lshr_b32 s60, s47, 1                                     // 0000000043A4: 8F3C812F
	s_lshl_b32 s60, s60, 8                                     // 0000000043A8: 8E3C883C
	s_add_u32 s80, 0x8b00, s60                                 // 0000000043AC: 80503CFF 00008B00
	s_add_u32 s81, 0x200, s80                                  // 0000000043B4: 805150FF 00000200
	s_mov_b32 s75, 0                                           // 0000000043BC: BECB0080
	s_mov_b32 s76, 1                                           // 0000000043C0: BECC0081
	s_lshl_b32 s60, s2, 1                                      // 0000000043C4: 8E3C8102
	s_add_u32 s60, 1, s60                                      // 0000000043C8: 803C3C81
	s_mul_i32 s60, 0xc0, s60                                   // 0000000043CC: 923C3CFF 000000C0
	s_cmp_ge_i32 s60, s50                                      // 0000000043D4: BF03323C
	s_cselect_b32 s76, s76, 2                                  // 0000000043D8: 854C824C

00000000000043dc <label_00F7>:
	s_mov_b32 m0, s80                                          // 0000000043DC: BEFC0050
	s_mov_b32 s66, 0                                           // 0000000043E0: BEC20080
	v_mov_b32_e32 v178, 0xff800000                             // 0000000043E4: 7F6402FF FF800000
	s_mov_b32 s74, 0                                           // 0000000043EC: BECA0080
	s_mul_i32 s68, 32, s70                                     // 0000000043F0: 924446A0
	s_mov_b32 s69, 32                                          // 0000000043F4: BEC500A0
	s_mul_i32 s60, s2, s51                                     // 0000000043F8: 923C3302
	s_mul_i32 s61, s45, s5                                     // 0000000043FC: 923D052D
	s_mul_i32 s62, s4, s6                                      // 000000004400: 923E0604
	s_add_u32 s54, s60, s61                                    // 000000004404: 80363D3C
	s_add_u32 s54, s54, s62                                    // 000000004408: 80363E36
	s_mul_i32 s61, s3, s52                                     // 00000000440C: 923D3403
	s_mul_i32 s62, s4, s53                                     // 000000004410: 923E3504
	s_add_u32 s55, s61, s62                                    // 000000004414: 80373E3D
	s_mul_i32 s60, 0xc0, s2                                    // 000000004418: 923C02FF 000000C0
	s_mul_i32 s60, s70, s60                                    // 000000004420: 923C3C46
	s_add_u32 s55, s60, s55                                    // 000000004424: 8037373C
	s_mov_b32 s56, s55                                         // 000000004428: BEB80037
	s_mul_i32 s59, 0xc0, s2                                    // 00000000442C: 923B02FF 000000C0
	s_add_u32 s73, 32, s59                                     // 000000004434: 80493BA0
	s_mul_i32 s62, s4, s93                                     // 000000004438: 923E5D04
	s_mul_i32 s62, s62, s92                                    // 00000000443C: 923E5C3E
	s_mul_i32 s61, s3, s92                                     // 000000004440: 923D5C03
	s_add_u32 s65, s61, s62                                    // 000000004444: 80413E3D
	s_mul_i32 s60, 0x300, s2                                   // 000000004448: 923C02FF 00000300
	s_add_u32 s65, s60, s65                                    // 000000004450: 8041413C
	s_mov_b32 s71, s7                                          // 000000004454: BEC70007
	v_lshrrev_b32_e32 v32, 4, v0                               // 000000004458: 20400084
	v_and_b32_e32 v33, 1, v32                                  // 00000000445C: 26424081
	v_lshlrev_b32_e32 v33, 1, v33                              // 000000004460: 24424281
	v_mul_i32_i24_e32 v33, s71, v33                            // 000000004464: 0C424247
	v_and_b32_e32 v34, 2, v32                                  // 000000004468: 26444082
	v_lshlrev_b32_e32 v34, 5, v34                              // 00000000446C: 24444485
	v_add_u32_e32 v33, v34, v33                                // 000000004470: 68424322
	v_and_b32_e32 v32, 15, v0                                  // 000000004474: 2640008F
	v_lshlrev_b32_e32 v32, 2, v32                              // 000000004478: 24404082
	v_add_u32_e32 v1, v32, v33                                 // 00000000447C: 68024320
	s_mul_i32 s60, s47, s71                                    // 000000004480: 923C472F
	s_mul_i32 s60, s60, 4                                      // 000000004484: 923C843C
	v_add_u32_e32 v1, s60, v1                                  // 000000004488: 6802023C
	v_add_u32_e32 v2, s71, v1                                  // 00000000448C: 68040247
	s_mul_i32 s60, 16, s71                                     // 000000004490: 923C4790
	v_add_u32_e32 v3, s60, v1                                  // 000000004494: 6806023C
	v_add_u32_e32 v4, s60, v2                                  // 000000004498: 6808043C
	v_lshrrev_b32_e32 v1, 2, v1                                // 00000000449C: 20020282
	v_lshrrev_b32_e32 v2, 2, v2                                // 0000000044A0: 20040482
	s_add_u32 s12, s54, s84                                    // 0000000044A4: 800C5436
	s_addc_u32 s13, 0, s85                                     // 0000000044A8: 820D5580
	s_add_u32 s16, s54, s86                                    // 0000000044AC: 80105636
	s_addc_u32 s17, 0, s87                                     // 0000000044B0: 82115780
	s_add_u32 s8, s55, s82                                     // 0000000044B4: 80085237
	s_addc_u32 s9, 0, s83                                      // 0000000044B8: 82095380
	s_add_u32 s20, s56, s88                                    // 0000000044BC: 80145838
	s_addc_u32 s21, 0, s89                                     // 0000000044C0: 82155980
	v_and_b32_e32 v15, 31, v0                                  // 0000000044C4: 261E009F
	v_lshlrev_b32_e32 v15, 2, v15                              // 0000000044C8: 241E1E82
	v_add_u32_e32 v15, s65, v15                                // 0000000044CC: 681E1E41
	v_lshrrev_b32_e32 v15, 2, v15                              // 0000000044D0: 201E1E82
	v_lshrrev_b32_e32 v32, 3, v0                               // 0000000044D4: 20400083
	v_mul_i32_i24_e32 v5, s46, v32                             // 0000000044D8: 0C0A402E
	v_lshrrev_b32_e32 v5, 2, v5                                // 0000000044DC: 200A0A82
	v_and_b32_e32 v32, 7, v0                                   // 0000000044E0: 26400087
	v_lshlrev_b32_e32 v33, 2, v32                              // 0000000044E4: 24424082
	v_add_u32_e32 v5, v33, v5                                  // 0000000044E8: 680A0B21
	s_mul_i32 s60, 16, s46                                     // 0000000044EC: 923C2E90
	s_mul_i32 s60, s47, s60                                    // 0000000044F0: 923C3C2F
	v_lshlrev_b32_e32 v5, 2, v5                                // 0000000044F4: 240A0A82
	v_add_u32_e32 v5, s60, v5                                  // 0000000044F8: 680A0A3C
	s_mul_i32 s60, 0xc0, s46                                   // 0000000044FC: 923C2EFF 000000C0
	s_mul_i32 s60, s2, s60                                     // 000000004504: 923C3C02
	s_mul_i32 s61, s3, s5                                      // 000000004508: 923D0503
	s_mul_i32 s62, s4, s6                                      // 00000000450C: 923E0604
	s_mul_i32 s62, s62, s44                                    // 000000004510: 923E2C3E
	s_add_u32 s60, s60, s61                                    // 000000004514: 803C3D3C
	s_add_u32 s60, s60, s62                                    // 000000004518: 803C3E3C
	v_add_u32_e32 v5, s60, v5                                  // 00000000451C: 680A0A3C
	v_lshrrev_b32_e32 v5, 2, v5                                // 000000004520: 200A0A82
	v_mov_b32_e32 v14, v5                                      // 000000004524: 7E1C0305
	v_lshrrev_b32_e32 v32, 5, v0                               // 000000004528: 20400085
	v_mul_i32_i24_e32 v6, s70, v32                             // 00000000452C: 0C0C4046
	v_lshrrev_b32_e32 v6, 2, v6                                // 000000004530: 200C0C82
	v_and_b32_e32 v32, 31, v0                                  // 000000004534: 2640009F
	v_add_u32_e32 v6, v32, v6                                  // 000000004538: 680C0D20
	s_mul_i32 s60, s70, 2                                      // 00000000453C: 923C8246
	s_mul_i32 s60, s47, s60                                    // 000000004540: 923C3C2F
	v_add_u32_e32 v6, s60, v6                                  // 000000004544: 680C0C3C
	v_lshlrev_b32_e32 v6, 2, v6                                // 000000004548: 240C0C82
	s_mul_i32 s60, 2, s70                                      // 00000000454C: 923C4682
	v_add_u32_e32 v7, s60, v6                                  // 000000004550: 680E0C3C
	v_add_u32_e32 v8, s60, v7                                  // 000000004554: 68100E3C
	v_add_u32_e32 v9, s60, v8                                  // 000000004558: 6812103C
	s_mov_b32 s60, s55                                         // 00000000455C: BEBC0037
	v_add_u32_e32 v12, s60, v9                                 // 000000004560: 6818123C
	v_add_u32_e32 v10, s60, v8                                 // 000000004564: 6814103C
	v_add_u32_e32 v8, s60, v7                                  // 000000004568: 68100E3C
	v_add_u32_e32 v6, s60, v6                                  // 00000000456C: 680C0C3C
	v_mov_b32_e32 v7, 0                                        // 000000004570: 7E0E0280
	v_mov_b32_e32 v9, 0                                        // 000000004574: 7E120280
	v_mov_b32_e32 v11, 0                                       // 000000004578: 7E160280
	v_mov_b32_e32 v13, 0                                       // 00000000457C: 7E1A0280
	s_mul_i32 s60, 3, s2                                       // 000000004580: 923C0283
	s_lshr_b32 s61, s50, 6                                     // 000000004584: 8F3D8632
	s_sub_i32 s72, s61, s60                                    // 000000004588: 81C83C3D
	s_cmp_lt_i32 s72, 3                                        // 00000000458C: BF048348
	s_cselect_b32 s72, s72, 3                                  // 000000004590: 85488348
	v_and_b32_e32 v32, 31, v0                                  // 000000004594: 2640009F
	v_lshrrev_b32_e32 v32, 1, v32                              // 000000004598: 20404081
	v_and_b32_e32 v33, 1, v32                                  // 00000000459C: 26424081
	v_lshlrev_b32_e32 v33, 4, v33                              // 0000000045A0: 24424284
	v_and_b32_e32 v34, 2, v32                                  // 0000000045A4: 26444082
	v_lshlrev_b32_e32 v34, 2, v34                              // 0000000045A8: 24444482
	v_add_u32_e32 v33, v34, v33                                // 0000000045AC: 68424322
	v_and_b32_e32 v34, 12, v32                                 // 0000000045B0: 2644408C
	v_lshrrev_b32_e32 v34, 1, v34                              // 0000000045B4: 20444481
	v_add_u32_e32 v33, v34, v33                                // 0000000045B8: 68424322
	v_lshrrev_b32_e32 v32, 5, v0                               // 0000000045BC: 20400085
	v_mul_i32_i24_e32 v34, 0x80, v32                           // 0000000045C0: 0C4440FF 00000080
	v_add_u32_e32 v33, v34, v33                                // 0000000045C8: 68424322
	v_and_b32_e32 v34, 1, v0                                   // 0000000045CC: 26440081
	v_add_u32_e32 v17, v34, v33                                // 0000000045D0: 68224322
	s_mul_i32 s60, s47, 32                                     // 0000000045D4: 923CA02F
	v_add_u32_e32 v17, s60, v17                                // 0000000045D8: 6822223C
	v_lshlrev_b32_e32 v17, 2, v17                              // 0000000045DC: 24222282
	v_lshrrev_b32_e32 v32, 4, v0                               // 0000000045E0: 20400084
	v_and_b32_e32 v33, 1, v32                                  // 0000000045E4: 26424081
	v_lshlrev_b32_e32 v33, 4, v33                              // 0000000045E8: 24424284
	v_and_b32_e32 v34, 2, v32                                  // 0000000045EC: 26444082
	v_mul_i32_i24_e32 v34, 4, v34                              // 0000000045F0: 0C444484
	v_add_u32_e32 v33, v34, v33                                // 0000000045F4: 68424322
	v_and_b32_e32 v32, 15, v0                                  // 0000000045F8: 2640008F
	v_lshrrev_b32_e32 v34, 2, v32                              // 0000000045FC: 20444082
	v_lshlrev_b32_e32 v34, 5, v34                              // 000000004600: 24444485
	v_add_u32_e32 v33, v34, v33                                // 000000004604: 68424322
	v_and_b32_e32 v32, 3, v0                                   // 000000004608: 26400083
	v_and_b32_e32 v34, 1, v32                                  // 00000000460C: 26444081
	v_mul_i32_i24_e32 v34, 0x108, v34                          // 000000004610: 0C4444FF 00000108
	v_add_u32_e32 v33, v34, v33                                // 000000004618: 68424322
	v_and_b32_e32 v34, 2, v32                                  // 00000000461C: 26444082
	v_lshlrev_b32_e32 v34, 1, v34                              // 000000004620: 24444481
	v_add_u32_e32 v16, v34, v33                                // 000000004624: 68204322
	v_lshlrev_b32_e32 v16, 2, v16                              // 000000004628: 24202082
	s_mul_i32 s60, s47, 0x880                                  // 00000000462C: 923CFF2F 00000880
	v_add_u32_e32 v28, s60, v16                                // 000000004634: 6838203C
	v_lshrrev_b32_e32 v32, 5, v0                               // 000000004638: 20400085
	v_mul_i32_i24_e32 v19, 0x80, v32                           // 00000000463C: 0C2640FF 00000080
	v_and_b32_e32 v32, 31, v0                                  // 000000004644: 2640009F
	v_and_b32_e32 v33, 7, v32                                  // 000000004648: 26424087
	v_and_b32_e32 v34, 1, v33                                  // 00000000464C: 26444281
	v_lshlrev_b32_e32 v34, 2, v34                              // 000000004650: 24444482
	v_add_u32_e32 v19, v34, v19                                // 000000004654: 68262722
	v_and_b32_e32 v34, 2, v33                                  // 000000004658: 26444282
	v_lshlrev_b32_e32 v34, 3, v34                              // 00000000465C: 24444483
	v_add_u32_e32 v19, v34, v19                                // 000000004660: 68262722
	v_and_b32_e32 v34, 4, v33                                  // 000000004664: 26444284
	v_lshlrev_b32_e32 v34, 1, v34                              // 000000004668: 24444481
	v_add_u32_e32 v19, v34, v19                                // 00000000466C: 68262722
	v_lshrrev_b32_e32 v33, 3, v32                              // 000000004670: 20424083
	v_and_b32_e32 v34, 1, v33                                  // 000000004674: 26444281
	v_lshlrev_b32_e32 v34, 1, v34                              // 000000004678: 24444481
	v_add_u32_e32 v19, v34, v19                                // 00000000467C: 68262722
	v_and_b32_e32 v34, 2, v33                                  // 000000004680: 26444282
	v_lshrrev_b32_e32 v34, 1, v34                              // 000000004684: 20444481
	v_add_u32_e32 v19, v34, v19                                // 000000004688: 68262722
	s_mul_i32 s60, s47, 32                                     // 00000000468C: 923CA02F
	v_add_u32_e32 v19, s60, v19                                // 000000004690: 6826263C
	v_lshlrev_b32_e32 v19, 2, v19                              // 000000004694: 24262682
	v_and_b32_e32 v32, 15, v0                                  // 000000004698: 2640008F
	v_and_b32_e32 v34, 1, v32                                  // 00000000469C: 26444081
	v_mul_i32_i24_e32 v18, 0x108, v34                          // 0000000046A0: 0C2444FF 00000108
	v_and_b32_e32 v34, 2, v32                                  // 0000000046A8: 26444082
	v_lshlrev_b32_e32 v34, 1, v34                              // 0000000046AC: 24444481
	v_add_u32_e32 v18, v34, v18                                // 0000000046B0: 68242522
	v_and_b32_e32 v34, 4, v32                                  // 0000000046B4: 26444084
	v_lshlrev_b32_e32 v34, 2, v34                              // 0000000046B8: 24444482
	v_add_u32_e32 v18, v34, v18                                // 0000000046BC: 68242522
	v_and_b32_e32 v34, 8, v32                                  // 0000000046C0: 26444088
	v_add_u32_e32 v18, v34, v18                                // 0000000046C4: 68242522
	v_lshrrev_b32_e32 v32, 4, v0                               // 0000000046C8: 20400084
	v_and_b32_e32 v34, 1, v32                                  // 0000000046CC: 26444081
	v_lshlrev_b32_e32 v34, 5, v34                              // 0000000046D0: 24444485
	v_add_u32_e32 v18, v34, v18                                // 0000000046D4: 68242522
	v_and_b32_e32 v33, 2, v32                                  // 0000000046D8: 26424082
	v_mul_i32_i24_e32 v34, 32, v33                             // 0000000046DC: 0C4442A0
	v_mul_i32_i24_e32 v33, 0x110, v33                          // 0000000046E0: 0C4242FF 00000110
	v_add_u32_e32 v29, v33, v18                                // 0000000046E8: 683A2521
	v_add_u32_e32 v18, v34, v18                                // 0000000046EC: 68242522
	v_lshlrev_b32_e32 v18, 2, v18                              // 0000000046F0: 24242482
	v_lshlrev_b32_e32 v29, 2, v29                              // 0000000046F4: 243A3A82
	s_and_b32 s60, 1, s47                                      // 0000000046F8: 863C2F81
	s_mul_i32 s60, s60, 0x200                                  // 0000000046FC: 923CFF3C 00000200
	v_add_u32_e32 v29, s60, v29                                // 000000004704: 683A3A3C
	v_lshrrev_b32_e32 v32, 4, v0                               // 000000004708: 20400084
	v_mul_i32_i24_e32 v27, 4, v32                              // 00000000470C: 0C364084
	v_and_b32_e32 v33, 3, v0                                   // 000000004710: 26420083
	v_add_u32_e32 v27, v33, v27                                // 000000004714: 68363721
	v_lshlrev_b32_e32 v27, 2, v27                              // 000000004718: 24363682
	v_lshrrev_b32_e32 v32, 5, v0                               // 00000000471C: 20400085
	v_mul_i32_i24_e32 v25, 2, v32                              // 000000004720: 0C324082
	v_and_b32_e32 v32, 31, v0                                  // 000000004724: 2640009F
	v_lshrrev_b32_e32 v32, 1, v32                              // 000000004728: 20404081
	v_mul_i32_i24_e32 v33, 34, v32                             // 00000000472C: 0C4240A2
	v_add_u32_e32 v25, v33, v25                                // 000000004730: 68323321
	v_and_b32_e32 v33, 1, v0                                   // 000000004734: 26420081
	v_add_u32_e32 v25, v33, v25                                // 000000004738: 68323321
	s_and_b32 s60, 1, s47                                      // 00000000473C: 863C2F81
	s_mul_i32 s60, s60, 16                                     // 000000004740: 923C903C
	s_lshr_b32 s61, s47, 1                                     // 000000004744: 8F3D812F
	s_mul_i32 s61, s61, 0x220                                  // 000000004748: 923DFF3D 00000220
	s_add_u32 s60, s60, s61                                    // 000000004750: 803C3D3C
	v_add_u32_e32 v25, s60, v25                                // 000000004754: 6832323C
	v_lshlrev_b32_e32 v25, 2, v25                              // 000000004758: 24323282
	v_lshrrev_b32_e32 v32, 4, v0                               // 00000000475C: 20400084
	v_mul_i32_i24_e32 v26, 34, v32                             // 000000004760: 0C3440A2
	v_and_b32_e32 v32, 15, v0                                  // 000000004764: 2640008F
	v_mul_i32_i24_e32 v33, 2, v32                              // 000000004768: 0C424082
	v_add_u32_e32 v26, v33, v26                                // 00000000476C: 68343521
	s_mul_i32 s60, s47, 0x110                                  // 000000004770: 923CFF2F 00000110
	v_add_u32_e32 v26, s60, v26                                // 000000004778: 6834343C
	v_lshlrev_b32_e32 v26, 2, v26                              // 00000000477C: 24343482
	v_lshrrev_b32_e32 v32, 5, v0                               // 000000004780: 20400085
	v_mul_i32_i24_e32 v23, 64, v32                             // 000000004784: 0C2E40C0
	v_and_b32_e32 v32, 31, v0                                  // 000000004788: 2640009F
	v_and_b32_e32 v32, 3, v32                                  // 00000000478C: 26404083
	v_and_b32_e32 v33, 1, v32                                  // 000000004790: 26424081
	v_mul_i32_i24_e32 v33, 4, v33                              // 000000004794: 0C424284
	v_add_u32_e32 v23, v33, v23                                // 000000004798: 682E2F21
	v_and_b32_e32 v33, 2, v32                                  // 00000000479C: 26424082
	v_mul_i32_i24_e32 v33, 0x44, v33                           // 0000000047A0: 0C4242FF 00000044
	v_add_u32_e32 v23, v33, v23                                // 0000000047A8: 682E2F21
	v_and_b32_e32 v32, 31, v0                                  // 0000000047AC: 2640009F
	v_lshrrev_b32_e32 v32, 2, v32                              // 0000000047B0: 20404082
	v_lshrrev_b32_e32 v34, 2, v32                              // 0000000047B4: 20444082
	v_mul_i32_i24_e32 v33, 16, v34                             // 0000000047B8: 0C424490
	v_add_u32_e32 v23, v33, v23                                // 0000000047BC: 682E2F21
	v_and_b32_e32 v33, 2, v32                                  // 0000000047C0: 26424082
	v_lshlrev_b32_e32 v33, 4, v33                              // 0000000047C4: 24424284
	v_add_u32_e32 v23, v33, v23                                // 0000000047C8: 682E2F21
	v_and_b32_e32 v33, 1, v32                                  // 0000000047CC: 26424081
	v_xor_b32_e32 v33, v34, v33                                // 0000000047D0: 2A424322
	v_mul_i32_i24_e32 v33, 8, v33                              // 0000000047D4: 0C424288
	v_add_u32_e32 v23, v33, v23                                // 0000000047D8: 682E2F21
	s_lshr_b32 s60, s47, 1                                     // 0000000047DC: 8F3C812F
	s_mul_i32 s60, s60, 0x6c0                                  // 0000000047E0: 923CFF3C 000006C0
	v_add_u32_e32 v23, s60, v23                                // 0000000047E8: 682E2E3C
	v_lshlrev_b32_e32 v23, 2, v23                              // 0000000047EC: 242E2E82
	v_lshrrev_b32_e32 v32, 5, v0                               // 0000000047F0: 20400085
	v_mul_i32_i24_e32 v24, 32, v32                             // 0000000047F4: 0C3040A0
	v_and_b32_e32 v32, 31, v0                                  // 0000000047F8: 2640009F
	v_and_b32_e32 v32, 3, v32                                  // 0000000047FC: 26404083
	v_and_b32_e32 v33, 1, v32                                  // 000000004800: 26424081
	v_mul_i32_i24_e32 v33, 4, v33                              // 000000004804: 0C424284
	v_add_u32_e32 v24, v33, v24                                // 000000004808: 68303121
	v_and_b32_e32 v33, 2, v32                                  // 00000000480C: 26424082
	v_lshrrev_b32_e32 v33, 1, v33                              // 000000004810: 20424281
	v_add_u32_e32 v24, v33, v24                                // 000000004814: 68303121
	v_and_b32_e32 v32, 31, v0                                  // 000000004818: 2640009F
	v_lshrrev_b32_e32 v32, 2, v32                              // 00000000481C: 20404082
	v_and_b32_e32 v34, 1, v32                                  // 000000004820: 26444081
	v_mul_i32_i24_e32 v33, 16, v34                             // 000000004824: 0C424490
	v_add_u32_e32 v24, v33, v24                                // 000000004828: 68303121
	v_and_b32_e32 v33, 2, v32                                  // 00000000482C: 26424082
	v_add_u32_e32 v24, v33, v24                                // 000000004830: 68303121
	v_lshrrev_b32_e32 v33, 2, v32                              // 000000004834: 20424082
	v_xor_b32_e32 v33, v34, v33                                // 000000004838: 2A424322
	v_mul_i32_i24_e32 v33, 8, v33                              // 00000000483C: 0C424288
	v_add_u32_e32 v24, v33, v24                                // 000000004840: 68303121
	s_and_b32 s60, 1, s47                                      // 000000004844: 863C2F81
	s_mul_i32 s60, s60, 64                                     // 000000004848: 923CC03C
	s_lshr_b32 s61, s47, 1                                     // 00000000484C: 8F3D812F
	s_mul_i32 s61, s61, 0x120                                  // 000000004850: 923DFF3D 00000120
	s_add_u32 s60, s60, s61                                    // 000000004858: 803C3D3C
	v_add_u32_e32 v24, s60, v24                                // 00000000485C: 6830303C
	v_lshlrev_b32_e32 v24, 2, v24                              // 000000004860: 24303082
	buffer_load_dword v180, v1, s[12:15], 0 idxen              // 000000004864: E0502000 8003B401
	buffer_load_dword v181, v2, s[12:15], 0 idxen              // 00000000486C: E0502000 8003B502
	s_mul_i32 s60, 16, s7                                      // 000000004874: 923C0790
	s_cmp_lt_i32 0, s72                                        // 000000004878: BF044880
	s_cselect_b32 s60, s60, 0                                  // 00000000487C: 853C803C
	s_add_u32 s12, s60, s12                                    // 000000004880: 800C0C3C
	s_addc_u32 s13, 0, s13                                     // 000000004884: 820D0D80
	buffer_load_dword v182, v1, s[12:15], 0 idxen              // 000000004888: E0502000 8003B601
	buffer_load_dword v183, v2, s[12:15], 0 idxen              // 000000004890: E0502000 8003B702
	s_mul_i32 s60, 16, s7                                      // 000000004898: 923C0790
	s_cmp_lt_i32 0, s72                                        // 00000000489C: BF044880
	s_cselect_b32 s60, s60, 0                                  // 0000000048A0: 853C803C
	s_add_u32 s12, s60, s12                                    // 0000000048A4: 800C0C3C
	s_addc_u32 s13, 0, s13                                     // 0000000048A8: 820D0D80
	buffer_load_dword v184, v1, s[12:15], 0 idxen              // 0000000048AC: E0502000 8003B801
	buffer_load_dword v185, v2, s[12:15], 0 idxen              // 0000000048B4: E0502000 8003B902
	s_mul_i32 s60, 16, s7                                      // 0000000048BC: 923C0790
	s_cmp_lt_i32 0, s72                                        // 0000000048C0: BF044880
	s_cselect_b32 s60, s60, 0                                  // 0000000048C4: 853C803C
	s_add_u32 s12, s60, s12                                    // 0000000048C8: 800C0C3C
	s_addc_u32 s13, 0, s13                                     // 0000000048CC: 820D0D80
	buffer_load_dword v186, v1, s[12:15], 0 idxen              // 0000000048D0: E0502000 8003BA01
	buffer_load_dword v187, v2, s[12:15], 0 idxen              // 0000000048D8: E0502000 8003BB02
	s_mul_i32 s60, 16, s7                                      // 0000000048E0: 923C0790
	s_cmp_lt_i32 1, s72                                        // 0000000048E4: BF044881
	s_cselect_b32 s60, s60, 0                                  // 0000000048E8: 853C803C
	s_add_u32 s12, s60, s12                                    // 0000000048EC: 800C0C3C
	s_addc_u32 s13, 0, s13                                     // 0000000048F0: 820D0D80
	buffer_load_dword v188, v1, s[12:15], 0 idxen              // 0000000048F4: E0502000 8003BC01
	buffer_load_dword v189, v2, s[12:15], 0 idxen              // 0000000048FC: E0502000 8003BD02
	s_mul_i32 s60, 16, s7                                      // 000000004904: 923C0790
	s_cmp_lt_i32 1, s72                                        // 000000004908: BF044881
	s_cselect_b32 s60, s60, 0                                  // 00000000490C: 853C803C
	s_add_u32 s12, s60, s12                                    // 000000004910: 800C0C3C
	s_addc_u32 s13, 0, s13                                     // 000000004914: 820D0D80
	buffer_load_dword v190, v1, s[12:15], 0 idxen              // 000000004918: E0502000 8003BE01
	buffer_load_dword v191, v2, s[12:15], 0 idxen              // 000000004920: E0502000 8003BF02
	s_mul_i32 s60, 16, s7                                      // 000000004928: 923C0790
	s_cmp_lt_i32 1, s72                                        // 00000000492C: BF044881
	s_cselect_b32 s60, s60, 0                                  // 000000004930: 853C803C
	s_add_u32 s12, s60, s12                                    // 000000004934: 800C0C3C
	s_addc_u32 s13, 0, s13                                     // 000000004938: 820D0D80
	buffer_load_dword v192, v1, s[12:15], 0 idxen              // 00000000493C: E0502000 8003C001
	buffer_load_dword v193, v2, s[12:15], 0 idxen              // 000000004944: E0502000 8003C102
	s_mul_i32 s60, 16, s7                                      // 00000000494C: 923C0790
	s_cmp_lt_i32 1, s72                                        // 000000004950: BF044881
	s_cselect_b32 s60, s60, 0                                  // 000000004954: 853C803C
	s_add_u32 s12, s60, s12                                    // 000000004958: 800C0C3C
	s_addc_u32 s13, 0, s13                                     // 00000000495C: 820D0D80
	buffer_load_dword v194, v1, s[12:15], 0 idxen              // 000000004960: E0502000 8003C201
	buffer_load_dword v195, v2, s[12:15], 0 idxen              // 000000004968: E0502000 8003C302
	s_mul_i32 s60, 16, s7                                      // 000000004970: 923C0790
	s_cmp_lt_i32 2, s72                                        // 000000004974: BF044882
	s_cselect_b32 s60, s60, 0                                  // 000000004978: 853C803C
	s_add_u32 s12, s60, s12                                    // 00000000497C: 800C0C3C
	s_addc_u32 s13, 0, s13                                     // 000000004980: 820D0D80
	buffer_load_dword v196, v1, s[12:15], 0 idxen              // 000000004984: E0502000 8003C401
	buffer_load_dword v197, v2, s[12:15], 0 idxen              // 00000000498C: E0502000 8003C502
	s_mul_i32 s60, 16, s7                                      // 000000004994: 923C0790
	s_cmp_lt_i32 2, s72                                        // 000000004998: BF044882
	s_cselect_b32 s60, s60, 0                                  // 00000000499C: 853C803C
	s_add_u32 s12, s60, s12                                    // 0000000049A0: 800C0C3C
	s_addc_u32 s13, 0, s13                                     // 0000000049A4: 820D0D80
	buffer_load_dword v198, v1, s[12:15], 0 idxen              // 0000000049A8: E0502000 8003C601
	buffer_load_dword v199, v2, s[12:15], 0 idxen              // 0000000049B0: E0502000 8003C702
	s_mul_i32 s60, 16, s7                                      // 0000000049B8: 923C0790
	s_cmp_lt_i32 2, s72                                        // 0000000049BC: BF044882
	s_cselect_b32 s60, s60, 0                                  // 0000000049C0: 853C803C
	s_add_u32 s12, s60, s12                                    // 0000000049C4: 800C0C3C
	s_addc_u32 s13, 0, s13                                     // 0000000049C8: 820D0D80
	buffer_load_dword v200, v1, s[12:15], 0 idxen              // 0000000049CC: E0502000 8003C801
	buffer_load_dword v201, v2, s[12:15], 0 idxen              // 0000000049D4: E0502000 8003C902
	s_mul_i32 s60, 16, s7                                      // 0000000049DC: 923C0790
	s_cmp_lt_i32 2, s72                                        // 0000000049E0: BF044882
	s_cselect_b32 s60, s60, 0                                  // 0000000049E4: 853C803C
	s_add_u32 s12, s60, s12                                    // 0000000049E8: 800C0C3C
	s_addc_u32 s13, 0, s13                                     // 0000000049EC: 820D0D80
	buffer_load_dword v202, v1, s[12:15], 0 idxen              // 0000000049F0: E0502000 8003CA01
	buffer_load_dword v203, v2, s[12:15], 0 idxen              // 0000000049F8: E0502000 8003CB02
	s_mul_i32 s60, 16, s7                                      // 000000004A00: 923C0790
	s_cmp_lt_i32 3, s72                                        // 000000004A04: BF044883
	s_cselect_b32 s60, s60, 0                                  // 000000004A08: 853C803C
	s_add_u32 s12, s60, s12                                    // 000000004A0C: 800C0C3C
	s_addc_u32 s13, 0, s13                                     // 000000004A10: 820D0D80
	s_waitcnt vmcnt(16) lgkmcnt(0)                             // 000000004A14: BF8C4070
	s_barrier                                                  // 000000004A18: BF8A0000
	s_cmp_lt_i32 0, s72                                        // 000000004A1C: BF044880
	s_cbranch_scc1 label_0291                                  // 000000004A20: BF850008
	v_mov_b32_e32 v180, 0                                      // 000000004A24: 7F680280
	v_mov_b32_e32 v181, 0                                      // 000000004A28: 7F6A0280
	v_mov_b32_e32 v182, 0                                      // 000000004A2C: 7F6C0280
	v_mov_b32_e32 v183, 0                                      // 000000004A30: 7F6E0280
	v_mov_b32_e32 v184, 0                                      // 000000004A34: 7F700280
	v_mov_b32_e32 v185, 0                                      // 000000004A38: 7F720280
	v_mov_b32_e32 v186, 0                                      // 000000004A3C: 7F740280
	v_mov_b32_e32 v187, 0                                      // 000000004A40: 7F760280

0000000000004a44 <label_0291>:
	v_perm_b32 v204, v181, v180, s63                           // 000000004A44: D1ED00CC 00FF69B5
	v_perm_b32 v205, v181, v180, s64                           // 000000004A4C: D1ED00CD 010369B5
	v_perm_b32 v206, v183, v182, s63                           // 000000004A54: D1ED00CE 00FF6DB7
	v_perm_b32 v207, v183, v182, s64                           // 000000004A5C: D1ED00CF 01036DB7
	v_perm_b32 v208, v185, v184, s63                           // 000000004A64: D1ED00D0 00FF71B9
	v_perm_b32 v209, v185, v184, s64                           // 000000004A6C: D1ED00D1 010371B9
	v_perm_b32 v210, v187, v186, s63                           // 000000004A74: D1ED00D2 00FF75BB
	v_perm_b32 v211, v187, v186, s64                           // 000000004A7C: D1ED00D3 010375BB
	ds_write_b32 v19, v204 offset:8704                         // 000000004A84: D81A2200 0000CC13
	ds_write_b32 v19, v205 offset:9760                         // 000000004A8C: D81A2620 0000CD13
	ds_write_b32 v19, v206 offset:10880                        // 000000004A94: D81A2A80 0000CE13
	ds_write_b32 v19, v207 offset:11936                        // 000000004A9C: D81A2EA0 0000CF13
	ds_write_b32 v19, v208 offset:13056                        // 000000004AA4: D81A3300 0000D013
	ds_write_b32 v19, v209 offset:14112                        // 000000004AAC: D81A3720 0000D113
	ds_write_b32 v19, v210 offset:15232                        // 000000004AB4: D81A3B80 0000D213
	ds_write_b32 v19, v211 offset:16288                        // 000000004ABC: D81A3FA0 0000D313
	ds_write_b32 v17, v180                                     // 000000004AC4: D81A0000 0000B411
	ds_write_b32 v17, v181 offset:1056                         // 000000004ACC: D81A0420 0000B511
	ds_write_b32 v17, v182 offset:2176                         // 000000004AD4: D81A0880 0000B611
	ds_write_b32 v17, v183 offset:3232                         // 000000004ADC: D81A0CA0 0000B711
	ds_write_b32 v17, v184 offset:4352                         // 000000004AE4: D81A1100 0000B811
	ds_write_b32 v17, v185 offset:5408                         // 000000004AEC: D81A1520 0000B911
	ds_write_b32 v17, v186 offset:6528                         // 000000004AF4: D81A1980 0000BA11
	ds_write_b32 v17, v187 offset:7584                         // 000000004AFC: D81A1DA0 0000BB11
	buffer_load_dword v180, v1, s[16:19], 0 idxen              // 000000004B04: E0502000 8004B401
	buffer_load_dword v181, v2, s[16:19], 0 idxen              // 000000004B0C: E0502000 8004B502
	s_mul_i32 s60, 16, s7                                      // 000000004B14: 923C0790
	s_cmp_lt_i32 0, s72                                        // 000000004B18: BF044880
	s_cselect_b32 s60, s60, 0                                  // 000000004B1C: 853C803C
	s_add_u32 s16, s60, s16                                    // 000000004B20: 8010103C
	s_addc_u32 s17, 0, s17                                     // 000000004B24: 82111180
	buffer_load_dword v182, v1, s[16:19], 0 idxen              // 000000004B28: E0502000 8004B601
	buffer_load_dword v183, v2, s[16:19], 0 idxen              // 000000004B30: E0502000 8004B702
	s_mul_i32 s60, 16, s7                                      // 000000004B38: 923C0790
	s_cmp_lt_i32 0, s72                                        // 000000004B3C: BF044880
	s_cselect_b32 s60, s60, 0                                  // 000000004B40: 853C803C
	s_add_u32 s16, s60, s16                                    // 000000004B44: 8010103C
	s_addc_u32 s17, 0, s17                                     // 000000004B48: 82111180
	buffer_load_dword v184, v1, s[16:19], 0 idxen              // 000000004B4C: E0502000 8004B801
	buffer_load_dword v185, v2, s[16:19], 0 idxen              // 000000004B54: E0502000 8004B902
	s_mul_i32 s60, 16, s7                                      // 000000004B5C: 923C0790
	s_cmp_lt_i32 0, s72                                        // 000000004B60: BF044880
	s_cselect_b32 s60, s60, 0                                  // 000000004B64: 853C803C
	s_add_u32 s16, s60, s16                                    // 000000004B68: 8010103C
	s_addc_u32 s17, 0, s17                                     // 000000004B6C: 82111180
	buffer_load_dword v186, v1, s[16:19], 0 idxen              // 000000004B70: E0502000 8004BA01
	buffer_load_dword v187, v2, s[16:19], 0 idxen              // 000000004B78: E0502000 8004BB02
	s_mul_i32 s60, 16, s7                                      // 000000004B80: 923C0790
	s_cmp_lt_i32 1, s72                                        // 000000004B84: BF044881
	s_cselect_b32 s60, s60, 0                                  // 000000004B88: 853C803C
	s_add_u32 s16, s60, s16                                    // 000000004B8C: 8010103C
	s_addc_u32 s17, 0, s17                                     // 000000004B90: 82111180
	s_waitcnt lgkmcnt(0)                                       // 000000004B94: BF8CC07F
	s_barrier                                                  // 000000004B98: BF8A0000
	ds_read_b128 a[24:27], v29 offset:8704                     // 000000004B9C: DBFE2200 1800001D
	ds_read_b128 a[28:31], v29 offset:8960                     // 000000004BA4: DBFE2300 1C00001D
	ds_read_b128 a[32:35], v29 offset:13056                    // 000000004BAC: DBFE3300 2000001D
	ds_read_b128 a[36:39], v29 offset:13312                    // 000000004BB4: DBFE3400 2400001D
	ds_read_b128 a[0:3], v28                                   // 000000004BBC: DBFE0000 0000001C
	ds_read_b128 a[4:7], v28 offset:512                        // 000000004BC4: DBFE0200 0400001C
	s_waitcnt vmcnt(16) lgkmcnt(0)                             // 000000004BCC: BF8C4070
	s_barrier                                                  // 000000004BD0: BF8A0000
	s_cmp_lt_i32 1, s72                                        // 000000004BD4: BF044881
	s_cbranch_scc1 label_02FF                                  // 000000004BD8: BF850008
	v_mov_b32_e32 v188, 0                                      // 000000004BDC: 7F780280
	v_mov_b32_e32 v189, 0                                      // 000000004BE0: 7F7A0280
	v_mov_b32_e32 v190, 0                                      // 000000004BE4: 7F7C0280
	v_mov_b32_e32 v191, 0                                      // 000000004BE8: 7F7E0280
	v_mov_b32_e32 v192, 0                                      // 000000004BEC: 7F800280
	v_mov_b32_e32 v193, 0                                      // 000000004BF0: 7F820280
	v_mov_b32_e32 v194, 0                                      // 000000004BF4: 7F840280
	v_mov_b32_e32 v195, 0                                      // 000000004BF8: 7F860280

0000000000004bfc <label_02FF>:
	v_perm_b32 v204, v189, v188, s63                           // 000000004BFC: D1ED00CC 00FF79BD
	v_perm_b32 v205, v189, v188, s64                           // 000000004C04: D1ED00CD 010379BD
	v_perm_b32 v206, v191, v190, s63                           // 000000004C0C: D1ED00CE 00FF7DBF
	v_perm_b32 v207, v191, v190, s64                           // 000000004C14: D1ED00CF 01037DBF
	v_perm_b32 v208, v193, v192, s63                           // 000000004C1C: D1ED00D0 00FF81C1
	v_perm_b32 v209, v193, v192, s64                           // 000000004C24: D1ED00D1 010381C1
	v_perm_b32 v210, v195, v194, s63                           // 000000004C2C: D1ED00D2 00FF85C3
	v_perm_b32 v211, v195, v194, s64                           // 000000004C34: D1ED00D3 010385C3
	ds_write_b32 v19, v204 offset:8704                         // 000000004C3C: D81A2200 0000CC13
	ds_write_b32 v19, v205 offset:9760                         // 000000004C44: D81A2620 0000CD13
	ds_write_b32 v19, v206 offset:10880                        // 000000004C4C: D81A2A80 0000CE13
	ds_write_b32 v19, v207 offset:11936                        // 000000004C54: D81A2EA0 0000CF13
	ds_write_b32 v19, v208 offset:13056                        // 000000004C5C: D81A3300 0000D013
	ds_write_b32 v19, v209 offset:14112                        // 000000004C64: D81A3720 0000D113
	ds_write_b32 v19, v210 offset:15232                        // 000000004C6C: D81A3B80 0000D213
	ds_write_b32 v19, v211 offset:16288                        // 000000004C74: D81A3FA0 0000D313
	ds_write_b32 v17, v188                                     // 000000004C7C: D81A0000 0000BC11
	ds_write_b32 v17, v189 offset:1056                         // 000000004C84: D81A0420 0000BD11
	ds_write_b32 v17, v190 offset:2176                         // 000000004C8C: D81A0880 0000BE11
	ds_write_b32 v17, v191 offset:3232                         // 000000004C94: D81A0CA0 0000BF11
	ds_write_b32 v17, v192 offset:4352                         // 000000004C9C: D81A1100 0000C011
	ds_write_b32 v17, v193 offset:5408                         // 000000004CA4: D81A1520 0000C111
	ds_write_b32 v17, v194 offset:6528                         // 000000004CAC: D81A1980 0000C211
	ds_write_b32 v17, v195 offset:7584                         // 000000004CB4: D81A1DA0 0000C311
	buffer_load_dword v188, v1, s[16:19], 0 idxen              // 000000004CBC: E0502000 8004BC01
	buffer_load_dword v189, v2, s[16:19], 0 idxen              // 000000004CC4: E0502000 8004BD02
	s_mul_i32 s60, 16, s7                                      // 000000004CCC: 923C0790
	s_cmp_lt_i32 1, s72                                        // 000000004CD0: BF044881
	s_cselect_b32 s60, s60, 0                                  // 000000004CD4: 853C803C
	s_add_u32 s16, s60, s16                                    // 000000004CD8: 8010103C
	s_addc_u32 s17, 0, s17                                     // 000000004CDC: 82111180
	buffer_load_dword v190, v1, s[16:19], 0 idxen              // 000000004CE0: E0502000 8004BE01
	buffer_load_dword v191, v2, s[16:19], 0 idxen              // 000000004CE8: E0502000 8004BF02
	s_mul_i32 s60, 16, s7                                      // 000000004CF0: 923C0790
	s_cmp_lt_i32 1, s72                                        // 000000004CF4: BF044881
	s_cselect_b32 s60, s60, 0                                  // 000000004CF8: 853C803C
	s_add_u32 s16, s60, s16                                    // 000000004CFC: 8010103C
	s_addc_u32 s17, 0, s17                                     // 000000004D00: 82111180
	buffer_load_dword v192, v1, s[16:19], 0 idxen              // 000000004D04: E0502000 8004C001
	buffer_load_dword v193, v2, s[16:19], 0 idxen              // 000000004D0C: E0502000 8004C102
	s_mul_i32 s60, 16, s7                                      // 000000004D14: 923C0790
	s_cmp_lt_i32 1, s72                                        // 000000004D18: BF044881
	s_cselect_b32 s60, s60, 0                                  // 000000004D1C: 853C803C
	s_add_u32 s16, s60, s16                                    // 000000004D20: 8010103C
	s_addc_u32 s17, 0, s17                                     // 000000004D24: 82111180
	buffer_load_dword v194, v1, s[16:19], 0 idxen              // 000000004D28: E0502000 8004C201
	buffer_load_dword v195, v2, s[16:19], 0 idxen              // 000000004D30: E0502000 8004C302
	s_mul_i32 s60, 16, s7                                      // 000000004D38: 923C0790
	s_cmp_lt_i32 2, s72                                        // 000000004D3C: BF044882
	s_cselect_b32 s60, s60, 0                                  // 000000004D40: 853C803C
	s_add_u32 s16, s60, s16                                    // 000000004D44: 8010103C
	s_addc_u32 s17, 0, s17                                     // 000000004D48: 82111180
	s_waitcnt lgkmcnt(0)                                       // 000000004D4C: BF8CC07F
	s_barrier                                                  // 000000004D50: BF8A0000
	ds_read_b128 a[40:43], v29 offset:8704                     // 000000004D54: DBFE2200 2800001D
	ds_read_b128 a[44:47], v29 offset:8960                     // 000000004D5C: DBFE2300 2C00001D
	ds_read_b128 a[48:51], v29 offset:13056                    // 000000004D64: DBFE3300 3000001D
	ds_read_b128 a[52:55], v29 offset:13312                    // 000000004D6C: DBFE3400 3400001D
	ds_read_b128 a[8:11], v28                                  // 000000004D74: DBFE0000 0800001C
	ds_read_b128 a[12:15], v28 offset:512                      // 000000004D7C: DBFE0200 0C00001C
	s_waitcnt vmcnt(16) lgkmcnt(0)                             // 000000004D84: BF8C4070
	s_barrier                                                  // 000000004D88: BF8A0000
	s_cmp_lt_i32 2, s72                                        // 000000004D8C: BF044882
	s_cbranch_scc1 label_036D                                  // 000000004D90: BF850008
	v_mov_b32_e32 v196, 0                                      // 000000004D94: 7F880280
	v_mov_b32_e32 v197, 0                                      // 000000004D98: 7F8A0280
	v_mov_b32_e32 v198, 0                                      // 000000004D9C: 7F8C0280
	v_mov_b32_e32 v199, 0                                      // 000000004DA0: 7F8E0280
	v_mov_b32_e32 v200, 0                                      // 000000004DA4: 7F900280
	v_mov_b32_e32 v201, 0                                      // 000000004DA8: 7F920280
	v_mov_b32_e32 v202, 0                                      // 000000004DAC: 7F940280
	v_mov_b32_e32 v203, 0                                      // 000000004DB0: 7F960280

0000000000004db4 <label_036D>:
	v_perm_b32 v204, v197, v196, s63                           // 000000004DB4: D1ED00CC 00FF89C5
	v_perm_b32 v205, v197, v196, s64                           // 000000004DBC: D1ED00CD 010389C5
	v_perm_b32 v206, v199, v198, s63                           // 000000004DC4: D1ED00CE 00FF8DC7
	v_perm_b32 v207, v199, v198, s64                           // 000000004DCC: D1ED00CF 01038DC7
	v_perm_b32 v208, v201, v200, s63                           // 000000004DD4: D1ED00D0 00FF91C9
	v_perm_b32 v209, v201, v200, s64                           // 000000004DDC: D1ED00D1 010391C9
	v_perm_b32 v210, v203, v202, s63                           // 000000004DE4: D1ED00D2 00FF95CB
	v_perm_b32 v211, v203, v202, s64                           // 000000004DEC: D1ED00D3 010395CB
	ds_write_b32 v19, v204 offset:8704                         // 000000004DF4: D81A2200 0000CC13
	ds_write_b32 v19, v205 offset:9760                         // 000000004DFC: D81A2620 0000CD13
	ds_write_b32 v19, v206 offset:10880                        // 000000004E04: D81A2A80 0000CE13
	ds_write_b32 v19, v207 offset:11936                        // 000000004E0C: D81A2EA0 0000CF13
	ds_write_b32 v19, v208 offset:13056                        // 000000004E14: D81A3300 0000D013
	ds_write_b32 v19, v209 offset:14112                        // 000000004E1C: D81A3720 0000D113
	ds_write_b32 v19, v210 offset:15232                        // 000000004E24: D81A3B80 0000D213
	ds_write_b32 v19, v211 offset:16288                        // 000000004E2C: D81A3FA0 0000D313
	ds_write_b32 v17, v196                                     // 000000004E34: D81A0000 0000C411
	ds_write_b32 v17, v197 offset:1056                         // 000000004E3C: D81A0420 0000C511
	ds_write_b32 v17, v198 offset:2176                         // 000000004E44: D81A0880 0000C611
	ds_write_b32 v17, v199 offset:3232                         // 000000004E4C: D81A0CA0 0000C711
	ds_write_b32 v17, v200 offset:4352                         // 000000004E54: D81A1100 0000C811
	ds_write_b32 v17, v201 offset:5408                         // 000000004E5C: D81A1520 0000C911
	ds_write_b32 v17, v202 offset:6528                         // 000000004E64: D81A1980 0000CA11
	ds_write_b32 v17, v203 offset:7584                         // 000000004E6C: D81A1DA0 0000CB11
	buffer_load_dword v196, v1, s[16:19], 0 idxen              // 000000004E74: E0502000 8004C401
	buffer_load_dword v197, v2, s[16:19], 0 idxen              // 000000004E7C: E0502000 8004C502
	s_mul_i32 s60, 16, s7                                      // 000000004E84: 923C0790
	s_cmp_lt_i32 2, s72                                        // 000000004E88: BF044882
	s_cselect_b32 s60, s60, 0                                  // 000000004E8C: 853C803C
	s_add_u32 s16, s60, s16                                    // 000000004E90: 8010103C
	s_addc_u32 s17, 0, s17                                     // 000000004E94: 82111180
	buffer_load_dword v198, v1, s[16:19], 0 idxen              // 000000004E98: E0502000 8004C601
	buffer_load_dword v199, v2, s[16:19], 0 idxen              // 000000004EA0: E0502000 8004C702
	s_mul_i32 s60, 16, s7                                      // 000000004EA8: 923C0790
	s_cmp_lt_i32 2, s72                                        // 000000004EAC: BF044882
	s_cselect_b32 s60, s60, 0                                  // 000000004EB0: 853C803C
	s_add_u32 s16, s60, s16                                    // 000000004EB4: 8010103C
	s_addc_u32 s17, 0, s17                                     // 000000004EB8: 82111180
	buffer_load_dword v200, v1, s[16:19], 0 idxen              // 000000004EBC: E0502000 8004C801
	buffer_load_dword v201, v2, s[16:19], 0 idxen              // 000000004EC4: E0502000 8004C902
	s_mul_i32 s60, 16, s7                                      // 000000004ECC: 923C0790
	s_cmp_lt_i32 2, s72                                        // 000000004ED0: BF044882
	s_cselect_b32 s60, s60, 0                                  // 000000004ED4: 853C803C
	s_add_u32 s16, s60, s16                                    // 000000004ED8: 8010103C
	s_addc_u32 s17, 0, s17                                     // 000000004EDC: 82111180
	buffer_load_dword v202, v1, s[16:19], 0 idxen              // 000000004EE0: E0502000 8004CA01
	buffer_load_dword v203, v2, s[16:19], 0 idxen              // 000000004EE8: E0502000 8004CB02
	s_mul_i32 s60, 16, s7                                      // 000000004EF0: 923C0790
	s_cmp_lt_i32 3, s72                                        // 000000004EF4: BF044883
	s_cselect_b32 s60, s60, 0                                  // 000000004EF8: 853C803C
	s_add_u32 s16, s60, s16                                    // 000000004EFC: 8010103C
	s_addc_u32 s17, 0, s17                                     // 000000004F00: 82111180
	s_waitcnt lgkmcnt(0)                                       // 000000004F04: BF8CC07F
	s_barrier                                                  // 000000004F08: BF8A0000
	ds_read_b128 a[56:59], v29 offset:8704                     // 000000004F0C: DBFE2200 3800001D
	ds_read_b128 a[60:63], v29 offset:8960                     // 000000004F14: DBFE2300 3C00001D
	ds_read_b128 a[64:67], v29 offset:13056                    // 000000004F1C: DBFE3300 4000001D
	ds_read_b128 a[68:71], v29 offset:13312                    // 000000004F24: DBFE3400 4400001D
	ds_read_b128 a[16:19], v28                                 // 000000004F2C: DBFE0000 1000001C
	ds_read_b128 a[20:23], v28 offset:512                      // 000000004F34: DBFE0200 1400001C
	s_waitcnt vmcnt(16) lgkmcnt(0)                             // 000000004F3C: BF8C4070
	s_barrier                                                  // 000000004F40: BF8A0000
	s_cmp_lt_i32 0, s72                                        // 000000004F44: BF044880
	s_cbranch_scc1 label_03DB                                  // 000000004F48: BF850008
	v_mov_b32_e32 v180, 0                                      // 000000004F4C: 7F680280
	v_mov_b32_e32 v181, 0                                      // 000000004F50: 7F6A0280
	v_mov_b32_e32 v182, 0                                      // 000000004F54: 7F6C0280
	v_mov_b32_e32 v183, 0                                      // 000000004F58: 7F6E0280
	v_mov_b32_e32 v184, 0                                      // 000000004F5C: 7F700280
	v_mov_b32_e32 v185, 0                                      // 000000004F60: 7F720280
	v_mov_b32_e32 v186, 0                                      // 000000004F64: 7F740280
	v_mov_b32_e32 v187, 0                                      // 000000004F68: 7F760280

0000000000004f6c <label_03DB>:
	ds_write_b32 v17, v180                                     // 000000004F6C: D81A0000 0000B411
	ds_write_b32 v17, v181 offset:1056                         // 000000004F74: D81A0420 0000B511
	ds_write_b32 v17, v182 offset:2176                         // 000000004F7C: D81A0880 0000B611
	ds_write_b32 v17, v183 offset:3232                         // 000000004F84: D81A0CA0 0000B711
	ds_write_b32 v17, v184 offset:4352                         // 000000004F8C: D81A1100 0000B811
	ds_write_b32 v17, v185 offset:5408                         // 000000004F94: D81A1520 0000B911
	ds_write_b32 v17, v186 offset:6528                         // 000000004F9C: D81A1980 0000BA11
	ds_write_b32 v17, v187 offset:7584                         // 000000004FA4: D81A1DA0 0000BB11
	s_mov_b32 s71, s70                                         // 000000004FAC: BEC70046
	v_lshrrev_b32_e32 v32, 4, v0                               // 000000004FB0: 20400084
	v_and_b32_e32 v33, 1, v32                                  // 000000004FB4: 26424081
	v_lshlrev_b32_e32 v33, 1, v33                              // 000000004FB8: 24424281
	v_mul_i32_i24_e32 v33, s71, v33                            // 000000004FBC: 0C424247
	v_and_b32_e32 v34, 2, v32                                  // 000000004FC0: 26444082
	v_lshlrev_b32_e32 v34, 5, v34                              // 000000004FC4: 24444485
	v_add_u32_e32 v33, v34, v33                                // 000000004FC8: 68424322
	v_and_b32_e32 v32, 15, v0                                  // 000000004FCC: 2640008F
	v_lshlrev_b32_e32 v32, 2, v32                              // 000000004FD0: 24404082
	v_add_u32_e32 v1, v32, v33                                 // 000000004FD4: 68024320
	s_mul_i32 s60, s47, s71                                    // 000000004FD8: 923C472F
	s_mul_i32 s60, s60, 4                                      // 000000004FDC: 923C843C
	v_add_u32_e32 v1, s60, v1                                  // 000000004FE0: 6802023C
	v_add_u32_e32 v2, s71, v1                                  // 000000004FE4: 68040247
	s_mul_i32 s60, 16, s71                                     // 000000004FE8: 923C4790
	v_add_u32_e32 v3, s60, v1                                  // 000000004FEC: 6806023C
	v_add_u32_e32 v4, s60, v2                                  // 000000004FF0: 6808043C
	v_lshrrev_b32_e32 v1, 2, v1                                // 000000004FF4: 20020282
	v_lshrrev_b32_e32 v2, 2, v2                                // 000000004FF8: 20040482
	v_lshrrev_b32_e32 v3, 2, v3                                // 000000004FFC: 20060682
	v_lshrrev_b32_e32 v4, 2, v4                                // 000000005000: 20080882
	buffer_load_dword v36, v1, s[8:11], 0 idxen                // 000000005004: E0502000 80022401
	buffer_load_dword v37, v2, s[8:11], 0 idxen                // 00000000500C: E0502000 80022502
	buffer_load_dword v38, v3, s[8:11], 0 idxen                // 000000005014: E0502000 80022603
	buffer_load_dword v39, v4, s[8:11], 0 idxen                // 00000000501C: E0502000 80022704
	buffer_load_dword v44, v1, s[20:23], 0 idxen               // 000000005024: E0502000 80052C01
	buffer_load_dword v45, v2, s[20:23], 0 idxen               // 00000000502C: E0502000 80052D02
	buffer_load_dword v46, v3, s[20:23], 0 idxen               // 000000005034: E0502000 80052E03
	buffer_load_dword v47, v4, s[20:23], 0 idxen               // 00000000503C: E0502000 80052F04
	s_waitcnt lgkmcnt(0)                                       // 000000005044: BF8CC07F
	s_barrier                                                  // 000000005048: BF8A0000
	ds_read_b128 a[72:75], v28                                 // 00000000504C: DBFE0000 4800001C
	ds_read_b128 a[76:79], v28 offset:512                      // 000000005054: DBFE0200 4C00001C
	s_add_u32 s8, s68, s8                                      // 00000000505C: 80080844
	s_addc_u32 s9, 0, s9                                       // 000000005060: 82090980
	s_add_u32 s20, s68, s20                                    // 000000005064: 80141444
	s_addc_u32 s21, 0, s21                                     // 000000005068: 82151580
	s_waitcnt vmcnt(16) lgkmcnt(0)                             // 00000000506C: BF8C4070
	s_barrier                                                  // 000000005070: BF8A0000
	s_cmp_lt_i32 1, s72                                        // 000000005074: BF044881
	s_cbranch_scc1 label_0427                                  // 000000005078: BF850008
	v_mov_b32_e32 v188, 0                                      // 00000000507C: 7F780280
	v_mov_b32_e32 v189, 0                                      // 000000005080: 7F7A0280
	v_mov_b32_e32 v190, 0                                      // 000000005084: 7F7C0280
	v_mov_b32_e32 v191, 0                                      // 000000005088: 7F7E0280
	v_mov_b32_e32 v192, 0                                      // 00000000508C: 7F800280
	v_mov_b32_e32 v193, 0                                      // 000000005090: 7F820280
	v_mov_b32_e32 v194, 0                                      // 000000005094: 7F840280
	v_mov_b32_e32 v195, 0                                      // 000000005098: 7F860280

000000000000509c <label_0427>:
	ds_write_b32 v17, v188                                     // 00000000509C: D81A0000 0000BC11
	ds_write_b32 v17, v189 offset:1056                         // 0000000050A4: D81A0420 0000BD11
	ds_write_b32 v17, v190 offset:2176                         // 0000000050AC: D81A0880 0000BE11
	ds_write_b32 v17, v191 offset:3232                         // 0000000050B4: D81A0CA0 0000BF11
	ds_write_b32 v17, v192 offset:4352                         // 0000000050BC: D81A1100 0000C011
	ds_write_b32 v17, v193 offset:5408                         // 0000000050C4: D81A1520 0000C111
	ds_write_b32 v17, v194 offset:6528                         // 0000000050CC: D81A1980 0000C211
	ds_write_b32 v17, v195 offset:7584                         // 0000000050D4: D81A1DA0 0000C311
	buffer_load_dword v40, v1, s[8:11], 0 idxen                // 0000000050DC: E0502000 80022801
	buffer_load_dword v41, v2, s[8:11], 0 idxen                // 0000000050E4: E0502000 80022902
	buffer_load_dword v42, v3, s[8:11], 0 idxen                // 0000000050EC: E0502000 80022A03
	buffer_load_dword v43, v4, s[8:11], 0 idxen                // 0000000050F4: E0502000 80022B04
	buffer_load_dword v48, v1, s[20:23], 0 idxen               // 0000000050FC: E0502000 80053001
	buffer_load_dword v49, v2, s[20:23], 0 idxen               // 000000005104: E0502000 80053102
	buffer_load_dword v50, v3, s[20:23], 0 idxen               // 00000000510C: E0502000 80053203
	buffer_load_dword v51, v4, s[20:23], 0 idxen               // 000000005114: E0502000 80053304
	s_waitcnt lgkmcnt(0)                                       // 00000000511C: BF8CC07F
	s_barrier                                                  // 000000005120: BF8A0000
	ds_read_b128 a[80:83], v28                                 // 000000005124: DBFE0000 5000001C
	ds_read_b128 a[84:87], v28 offset:512                      // 00000000512C: DBFE0200 5400001C
	s_add_u32 s60, 64, s59                                     // 000000005134: 803C3BC0
	s_cmp_lt_u32 s60, s58                                      // 000000005138: BF0A3A3C
	s_cselect_b32 s68, s68, 0                                  // 00000000513C: 85448044
	s_add_u32 s8, s68, s8                                      // 000000005140: 80080844
	s_addc_u32 s9, 0, s9                                       // 000000005144: 82090980
	s_add_u32 s20, s68, s20                                    // 000000005148: 80141444
	s_addc_u32 s21, 0, s21                                     // 00000000514C: 82151580
	s_waitcnt vmcnt(16) lgkmcnt(0)                             // 000000005150: BF8C4070
	s_barrier                                                  // 000000005154: BF8A0000
	s_cmp_lt_i32 2, s72                                        // 000000005158: BF044882
	s_cbranch_scc1 label_0460                                  // 00000000515C: BF850008
	v_mov_b32_e32 v196, 0                                      // 000000005160: 7F880280
	v_mov_b32_e32 v197, 0                                      // 000000005164: 7F8A0280
	v_mov_b32_e32 v198, 0                                      // 000000005168: 7F8C0280
	v_mov_b32_e32 v199, 0                                      // 00000000516C: 7F8E0280
	v_mov_b32_e32 v200, 0                                      // 000000005170: 7F900280
	v_mov_b32_e32 v201, 0                                      // 000000005174: 7F920280
	v_mov_b32_e32 v202, 0                                      // 000000005178: 7F940280
	v_mov_b32_e32 v203, 0                                      // 00000000517C: 7F960280

0000000000005180 <label_0460>:
	ds_write_b32 v17, v196                                     // 000000005180: D81A0000 0000C411
	ds_write_b32 v17, v197 offset:1056                         // 000000005188: D81A0420 0000C511
	ds_write_b32 v17, v198 offset:2176                         // 000000005190: D81A0880 0000C611
	ds_write_b32 v17, v199 offset:3232                         // 000000005198: D81A0CA0 0000C711
	ds_write_b32 v17, v200 offset:4352                         // 0000000051A0: D81A1100 0000C811
	ds_write_b32 v17, v201 offset:5408                         // 0000000051A8: D81A1520 0000C911
	ds_write_b32 v17, v202 offset:6528                         // 0000000051B0: D81A1980 0000CA11
	ds_write_b32 v17, v203 offset:7584                         // 0000000051B8: D81A1DA0 0000CB11
	s_waitcnt lgkmcnt(0)                                       // 0000000051C0: BF8CC07F
	s_barrier                                                  // 0000000051C4: BF8A0000
	ds_read_b128 a[88:91], v28                                 // 0000000051C8: DBFE0000 5800001C
	ds_read_b128 a[92:95], v28 offset:512                      // 0000000051D0: DBFE0200 5C00001C
	s_waitcnt vmcnt(8) lgkmcnt(0)                              // 0000000051D8: BF8C0078
	s_barrier                                                  // 0000000051DC: BF8A0000
	buffer_load_dword v15, s[24:27], 0 idxen lds               // 0000000051E0: E0512000 8006000F
	s_mov_b32 m0, s81                                          // 0000000051E8: BEFC0051
	v_add_u32_e32 v15, s69, v15                                // 0000000051EC: 681E1E45
	v_perm_b32 v100, v37, v36, s63                             // 0000000051F0: D1ED0064 00FE4925
	v_perm_b32 v101, v37, v36, s64                             // 0000000051F8: D1ED0065 01024925
	v_perm_b32 v102, v39, v38, s63                             // 000000005200: D1ED0066 00FE4D27
	v_perm_b32 v103, v39, v38, s64                             // 000000005208: D1ED0067 01024D27
	ds_write_b32 v19, v100 offset:4352                         // 000000005210: D81A1100 00006413
	ds_write_b32 v19, v101 offset:5408                         // 000000005218: D81A1520 00006513
	ds_write_b32 v19, v102 offset:6528                         // 000000005220: D81A1980 00006613
	ds_write_b32 v19, v103 offset:7584                         // 000000005228: D81A1DA0 00006713
	ds_write_b32 v17, v36                                      // 000000005230: D81A0000 00002411
	ds_write_b32 v17, v37 offset:1056                          // 000000005238: D81A0420 00002511
	ds_write_b32 v17, v38 offset:2176                          // 000000005240: D81A0880 00002611
	ds_write_b32 v17, v39 offset:3232                          // 000000005248: D81A0CA0 00002711
	buffer_load_dword v15, s[24:27], 0 idxen lds               // 000000005250: E0512000 8006000F
	s_add_u32 s60, 64, s59                                     // 000000005258: 803C3BC0
	s_cmp_lt_u32 s60, s58                                      // 00000000525C: BF0A3A3C
	s_cselect_b32 s69, s69, 0                                  // 000000005260: 85458045
	s_mov_b32 m0, s80                                          // 000000005264: BEFC0050
	v_add_u32_e32 v15, s69, v15                                // 000000005268: 681E1E45
	v_perm_b32 v104, v45, v44, s63                             // 00000000526C: D1ED0068 00FE592D
	v_perm_b32 v105, v45, v44, s64                             // 000000005274: D1ED0069 0102592D
	v_perm_b32 v106, v47, v46, s63                             // 00000000527C: D1ED006A 00FE5D2F
	v_perm_b32 v107, v47, v46, s64                             // 000000005284: D1ED006B 01025D2F
	ds_write_b32 v19, v104 offset:13056                        // 00000000528C: D81A3300 00006813
	ds_write_b32 v19, v105 offset:14112                        // 000000005294: D81A3720 00006913
	ds_write_b32 v19, v106 offset:15232                        // 00000000529C: D81A3B80 00006A13
	ds_write_b32 v19, v107 offset:16288                        // 0000000052A4: D81A3FA0 00006B13
	ds_write_b32 v17, v44 offset:8704                          // 0000000052AC: D81A2200 00002C11
	ds_write_b32 v17, v45 offset:9760                          // 0000000052B4: D81A2620 00002D11
	ds_write_b32 v17, v46 offset:10880                         // 0000000052BC: D81A2A80 00002E11
	ds_write_b32 v17, v47 offset:11936                         // 0000000052C4: D81A2EA0 00002F11
	s_waitcnt vmcnt(1) lgkmcnt(0)                              // 0000000052CC: BF8C0071
	s_barrier                                                  // 0000000052D0: BF8A0000
	ds_read_b128 a[96:99], v16                                 // 0000000052D4: DBFE0000 60000010
	ds_read_b128 a[100:103], v16 offset:512                    // 0000000052DC: DBFE0200 64000010
	ds_read_b128 a[104:107], v16 offset:2176                   // 0000000052E4: DBFE0880 68000010
	ds_read_b128 a[108:111], v16 offset:2688                   // 0000000052EC: DBFE0A80 6C000010
	ds_read_b128 v[108:111], v16 offset:8704                   // 0000000052F4: D9FE2200 6C000010
	ds_read_b128 v[112:115], v16 offset:9216                   // 0000000052FC: D9FE2400 70000010
	ds_read_b128 v[116:119], v16 offset:10880                  // 000000005304: D9FE2A80 74000010
	ds_read_b128 v[120:123], v16 offset:11392                  // 00000000530C: D9FE2C80 78000010
	ds_read_b32 v140, v27 offset:35584                         // 000000005314: D86C8B00 8C00001B
	ds_read_b32 v144, v27 offset:35648                         // 00000000531C: D86C8B40 9000001B
	ds_read_b32 v176, v27 offset:35840                         // 000000005324: D86C8C00 B000001B
	ds_read_b32 v177, v27 offset:35904                         // 00000000532C: D86C8C40 B100001B
	v_accvgpr_write_b32 a112, 0                                // 000000005334: D3D94070 18000080
	v_mov_b32_e32 v180, 0                                      // 00000000533C: 7F680280
	v_accvgpr_write_b32 a113, 0                                // 000000005340: D3D94071 18000080
	v_mov_b32_e32 v181, 0                                      // 000000005348: 7F6A0280
	v_accvgpr_write_b32 a114, 0                                // 00000000534C: D3D94072 18000080
	v_mov_b32_e32 v182, 0                                      // 000000005354: 7F6C0280
	v_accvgpr_write_b32 a115, 0                                // 000000005358: D3D94073 18000080
	v_mov_b32_e32 v183, 0                                      // 000000005360: 7F6E0280
	v_accvgpr_write_b32 a116, 0                                // 000000005364: D3D94074 18000080
	v_mov_b32_e32 v184, 0                                      // 00000000536C: 7F700280
	v_accvgpr_write_b32 a117, 0                                // 000000005370: D3D94075 18000080
	v_mov_b32_e32 v185, 0                                      // 000000005378: 7F720280
	v_accvgpr_write_b32 a118, 0                                // 00000000537C: D3D94076 18000080
	v_mov_b32_e32 v186, 0                                      // 000000005384: 7F740280
	v_accvgpr_write_b32 a119, 0                                // 000000005388: D3D94077 18000080
	v_mov_b32_e32 v187, 0                                      // 000000005390: 7F760280
	v_accvgpr_write_b32 a120, 0                                // 000000005394: D3D94078 18000080
	v_mov_b32_e32 v188, 0                                      // 00000000539C: 7F780280
	v_accvgpr_write_b32 a121, 0                                // 0000000053A0: D3D94079 18000080
	v_mov_b32_e32 v189, 0                                      // 0000000053A8: 7F7A0280
	v_accvgpr_write_b32 a122, 0                                // 0000000053AC: D3D9407A 18000080
	v_mov_b32_e32 v190, 0                                      // 0000000053B4: 7F7C0280
	v_accvgpr_write_b32 a123, 0                                // 0000000053B8: D3D9407B 18000080
	v_mov_b32_e32 v191, 0                                      // 0000000053C0: 7F7E0280
	v_accvgpr_write_b32 a124, 0                                // 0000000053C4: D3D9407C 18000080
	v_mov_b32_e32 v192, 0                                      // 0000000053CC: 7F800280
	v_accvgpr_write_b32 a125, 0                                // 0000000053D0: D3D9407D 18000080
	v_mov_b32_e32 v193, 0                                      // 0000000053D8: 7F820280
	v_accvgpr_write_b32 a126, 0                                // 0000000053DC: D3D9407E 18000080
	v_mov_b32_e32 v194, 0                                      // 0000000053E4: 7F840280
	v_accvgpr_write_b32 a127, 0                                // 0000000053E8: D3D9407F 18000080
	v_mov_b32_e32 v195, 0                                      // 0000000053F0: 7F860280
	v_accvgpr_write_b32 a128, 0                                // 0000000053F4: D3D94080 18000080
	v_mov_b32_e32 v196, 0                                      // 0000000053FC: 7F880280
	v_accvgpr_write_b32 a129, 0                                // 000000005400: D3D94081 18000080
	v_mov_b32_e32 v197, 0                                      // 000000005408: 7F8A0280
	v_accvgpr_write_b32 a130, 0                                // 00000000540C: D3D94082 18000080
	v_mov_b32_e32 v198, 0                                      // 000000005414: 7F8C0280
	v_accvgpr_write_b32 a131, 0                                // 000000005418: D3D94083 18000080
	v_mov_b32_e32 v199, 0                                      // 000000005420: 7F8E0280
	v_accvgpr_write_b32 a132, 0                                // 000000005424: D3D94084 18000080
	v_mov_b32_e32 v200, 0                                      // 00000000542C: 7F900280
	v_accvgpr_write_b32 a133, 0                                // 000000005430: D3D94085 18000080
	v_mov_b32_e32 v201, 0                                      // 000000005438: 7F920280
	v_accvgpr_write_b32 a134, 0                                // 00000000543C: D3D94086 18000080
	v_mov_b32_e32 v202, 0                                      // 000000005444: 7F940280
	v_accvgpr_write_b32 a135, 0                                // 000000005448: D3D94087 18000080
	v_mov_b32_e32 v203, 0                                      // 000000005450: 7F960280
	v_accvgpr_write_b32 a136, 0                                // 000000005454: D3D94088 18000080
	v_mov_b32_e32 v204, 0                                      // 00000000545C: 7F980280
	v_accvgpr_write_b32 a137, 0                                // 000000005460: D3D94089 18000080
	v_mov_b32_e32 v205, 0                                      // 000000005468: 7F9A0280
	v_accvgpr_write_b32 a138, 0                                // 00000000546C: D3D9408A 18000080
	v_mov_b32_e32 v206, 0                                      // 000000005474: 7F9C0280
	v_accvgpr_write_b32 a139, 0                                // 000000005478: D3D9408B 18000080
	v_mov_b32_e32 v207, 0                                      // 000000005480: 7F9E0280
	v_accvgpr_write_b32 a140, 0                                // 000000005484: D3D9408C 18000080
	v_mov_b32_e32 v208, 0                                      // 00000000548C: 7FA00280
	v_accvgpr_write_b32 a141, 0                                // 000000005490: D3D9408D 18000080
	v_mov_b32_e32 v209, 0                                      // 000000005498: 7FA20280
	v_accvgpr_write_b32 a142, 0                                // 00000000549C: D3D9408E 18000080
	v_mov_b32_e32 v210, 0                                      // 0000000054A4: 7FA40280
	v_accvgpr_write_b32 a143, 0                                // 0000000054A8: D3D9408F 18000080
	v_mov_b32_e32 v211, 0                                      // 0000000054B0: 7FA60280
	v_accvgpr_write_b32 a144, 0                                // 0000000054B4: D3D94090 18000080
	v_mov_b32_e32 v212, 0                                      // 0000000054BC: 7FA80280
	v_accvgpr_write_b32 a145, 0                                // 0000000054C0: D3D94091 18000080
	v_mov_b32_e32 v213, 0                                      // 0000000054C8: 7FAA0280
	v_accvgpr_write_b32 a146, 0                                // 0000000054CC: D3D94092 18000080
	v_mov_b32_e32 v214, 0                                      // 0000000054D4: 7FAC0280
	v_accvgpr_write_b32 a147, 0                                // 0000000054D8: D3D94093 18000080
	v_mov_b32_e32 v215, 0                                      // 0000000054E0: 7FAE0280
	v_accvgpr_write_b32 a148, 0                                // 0000000054E4: D3D94094 18000080
	v_mov_b32_e32 v216, 0                                      // 0000000054EC: 7FB00280
	v_accvgpr_write_b32 a149, 0                                // 0000000054F0: D3D94095 18000080
	v_mov_b32_e32 v217, 0                                      // 0000000054F8: 7FB20280
	v_accvgpr_write_b32 a150, 0                                // 0000000054FC: D3D94096 18000080
	v_mov_b32_e32 v218, 0                                      // 000000005504: 7FB40280
	v_accvgpr_write_b32 a151, 0                                // 000000005508: D3D94097 18000080
	v_mov_b32_e32 v219, 0                                      // 000000005510: 7FB60280
	v_accvgpr_write_b32 a152, 0                                // 000000005514: D3D94098 18000080
	v_mov_b32_e32 v220, 0                                      // 00000000551C: 7FB80280
	v_accvgpr_write_b32 a153, 0                                // 000000005520: D3D94099 18000080
	v_mov_b32_e32 v221, 0                                      // 000000005528: 7FBA0280
	v_accvgpr_write_b32 a154, 0                                // 00000000552C: D3D9409A 18000080
	v_mov_b32_e32 v222, 0                                      // 000000005534: 7FBC0280
	v_accvgpr_write_b32 a155, 0                                // 000000005538: D3D9409B 18000080
	v_mov_b32_e32 v223, 0                                      // 000000005540: 7FBE0280
	v_accvgpr_write_b32 a156, 0                                // 000000005544: D3D9409C 18000080
	v_mov_b32_e32 v224, 0                                      // 00000000554C: 7FC00280
	v_accvgpr_write_b32 a157, 0                                // 000000005550: D3D9409D 18000080
	v_mov_b32_e32 v225, 0                                      // 000000005558: 7FC20280
	v_accvgpr_write_b32 a158, 0                                // 00000000555C: D3D9409E 18000080
	v_mov_b32_e32 v226, 0                                      // 000000005564: 7FC40280
	v_accvgpr_write_b32 a159, 0                                // 000000005568: D3D9409F 18000080
	v_mov_b32_e32 v227, 0                                      // 000000005570: 7FC60280
	v_mov_b32_e32 v156, 0                                      // 000000005574: 7F380280
	v_mov_b32_e32 v157, 0                                      // 000000005578: 7F3A0280
	v_mov_b32_e32 v158, 0                                      // 00000000557C: 7F3C0280
	v_mov_b32_e32 v159, 0                                      // 000000005580: 7F3E0280
	v_mov_b32_e32 v160, 0                                      // 000000005584: 7F400280
	v_mov_b32_e32 v161, 0                                      // 000000005588: 7F420280
	v_mov_b32_e32 v162, 0                                      // 00000000558C: 7F440280
	v_mov_b32_e32 v163, 0                                      // 000000005590: 7F460280
	v_mov_b32_e32 v148, 0                                      // 000000005594: 7F280280
	v_mov_b32_e32 v149, 0                                      // 000000005598: 7F2A0280
	v_mov_b32_e32 v150, 0                                      // 00000000559C: 7F2C0280
	v_mov_b32_e32 v151, 0                                      // 0000000055A0: 7F2E0280
	v_mov_b32_e32 v152, 0                                      // 0000000055A4: 7F300280
	v_mov_b32_e32 v153, 0                                      // 0000000055A8: 7F320280
	v_mov_b32_e32 v154, 0                                      // 0000000055AC: 7F340280
	v_mov_b32_e32 v155, 0                                      // 0000000055B0: 7F360280
	s_waitcnt lgkmcnt(0)                                       // 0000000055B4: BF8CC07F
	s_barrier                                                  // 0000000055B8: BF8A0000
	buffer_load_dword v36, v1, s[8:11], 0 idxen                // 0000000055BC: E0502000 80022401
	buffer_load_dword v37, v2, s[8:11], 0 idxen                // 0000000055C4: E0502000 80022502
	buffer_load_dword v38, v3, s[8:11], 0 idxen                // 0000000055CC: E0502000 80022603
	buffer_load_dword v39, v4, s[8:11], 0 idxen                // 0000000055D4: E0502000 80022704
	buffer_load_dword v44, v1, s[20:23], 0 idxen               // 0000000055DC: E0502000 80052C01
	buffer_load_dword v45, v2, s[20:23], 0 idxen               // 0000000055E4: E0502000 80052D02
	buffer_load_dword v46, v3, s[20:23], 0 idxen               // 0000000055EC: E0502000 80052E03
	buffer_load_dword v47, v4, s[20:23], 0 idxen               // 0000000055F4: E0502000 80052F04
	buffer_load_dword v15, s[24:27], 0 idxen lds               // 0000000055FC: E0512000 8006000F
	s_add_u32 s60, 0x60, s59                                   // 000000005604: 803C3BFF 00000060
	s_cmp_lt_u32 s60, s58                                      // 00000000560C: BF0A3A3C
	s_cselect_b32 s68, s68, 0                                  // 000000005610: 85448044
	s_cselect_b32 s69, s69, 0                                  // 000000005614: 85458045
	s_mov_b32 m0, s81                                          // 000000005618: BEFC0051
	v_add_u32_e32 v15, s69, v15                                // 00000000561C: 681E1E45
	s_add_u32 s8, s68, s8                                      // 000000005620: 80080844
	s_addc_u32 s9, 0, s9                                       // 000000005624: 82090980
	s_add_u32 s20, s68, s20                                    // 000000005628: 80141444
	s_addc_u32 s21, 0, s21                                     // 00000000562C: 82151580
	v_mul_f32_e32 v140, s49, v140                              // 000000005630: 0B191831
	v_mul_f32_e32 v144, s49, v144                              // 000000005634: 0B212031
	v_perm_b32 v100, v41, v40, s63                             // 000000005638: D1ED0064 00FE5129
	v_perm_b32 v101, v41, v40, s64                             // 000000005640: D1ED0065 01025129
	v_perm_b32 v102, v43, v42, s63                             // 000000005648: D1ED0066 00FE552B
	v_perm_b32 v103, v43, v42, s64                             // 000000005650: D1ED0067 0102552B
	v_perm_b32 v104, v49, v48, s63                             // 000000005658: D1ED0068 00FE6131
	v_perm_b32 v105, v49, v48, s64                             // 000000005660: D1ED0069 01026131
	v_perm_b32 v106, v51, v50, s63                             // 000000005668: D1ED006A 00FE6533
	v_perm_b32 v107, v51, v50, s64                             // 000000005670: D1ED006B 01026533
	v_mov_b32_dpp v143, v140 quad_perm:[3,3,3,3] row_mask:0xf bank_mask:0xf// 000000005678: 7F1E02FA FF00FF8C
	v_mov_b32_dpp v142, v140 quad_perm:[2,2,2,2] row_mask:0xf bank_mask:0xf// 000000005680: 7F1C02FA FF00AA8C
	v_mov_b32_dpp v141, v140 quad_perm:[1,1,1,1] row_mask:0xf bank_mask:0xf// 000000005688: 7F1A02FA FF00558C
	v_mov_b32_dpp v140, v140 quad_perm:[0,0,0,0] row_mask:0xf bank_mask:0xf// 000000005690: 7F1802FA FF00008C
	v_mov_b32_dpp v147, v144 quad_perm:[3,3,3,3] row_mask:0xf bank_mask:0xf// 000000005698: 7F2602FA FF00FF90
	v_mov_b32_dpp v146, v144 quad_perm:[2,2,2,2] row_mask:0xf bank_mask:0xf// 0000000056A0: 7F2402FA FF00AA90
	v_mov_b32_dpp v145, v144 quad_perm:[1,1,1,1] row_mask:0xf bank_mask:0xf// 0000000056A8: 7F2202FA FF005590
	v_mov_b32_dpp v144, v144 quad_perm:[0,0,0,0] row_mask:0xf bank_mask:0xf// 0000000056B0: 7F2002FA FF000090
	s_waitcnt vmcnt(9)                                         // 0000000056B8: BF8C0F79
	s_barrier                                                  // 0000000056BC: BF8A0000
	s_cmp_lt_i32 s47, 2                                        // 0000000056C0: BF04822F
	s_cbranch_scc0 label_0D17                                  // 0000000056C4: BF840765
	s_nop 0                                                    // 0000000056C8: BF800000
	s_nop 0                                                    // 0000000056CC: BF800000
	s_nop 0                                                    // 0000000056D0: BF800000

00000000000056d4 <label_05B5>:
	s_waitcnt lgkmcnt(4)                                       // 0000000056D4: BF8CC47F
	s_barrier                                                  // 0000000056D8: BF8A0000
	v_mfma_f32_16x16x16_bf16 v[52:55], a[96:97], a[0:1], 0     // 0000000056DC: D3E10034 1A020160
	ds_write_b32 v17, v48 offset:8704                          // 0000000056E4: D81A2200 00003011
	ds_write_b32 v17, v49 offset:9760                          // 0000000056EC: D81A2620 00003111
	v_mfma_f32_16x16x16_bf16 v[52:55], a[98:99], a[2:3], v[52:55]// 0000000056F4: D3E10034 1CD20562
	v_mul_f32_e32 v148, s48, v148                              // 0000000056FC: 0B292830
	v_mul_f32_e32 v149, s48, v149                              // 000000005700: 0B2B2A30
	v_mfma_f32_16x16x16_bf16 v[52:55], a[100:101], a[4:5], v[52:55]// 000000005704: D3E10034 1CD20964
	ds_write_b32 v17, v50 offset:10880                         // 00000000570C: D81A2A80 00003211
	ds_write_b32 v17, v51 offset:11936                         // 000000005714: D81A2EA0 00003311
	v_mfma_f32_16x16x16_bf16 v[52:55], a[102:103], a[6:7], v[52:55]// 00000000571C: D3E10034 1CD20D66
	v_mul_f32_e32 v150, s48, v150                              // 000000005724: 0B2D2C30
	v_mul_f32_e32 v151, s48, v151                              // 000000005728: 0B2F2E30
	v_mfma_f32_16x16x16_bf16 v[56:59], a[96:97], a[8:9], 0     // 00000000572C: D3E10038 1A021160
	v_mul_f32_e32 v152, s48, v152                              // 000000005734: 0B313030
	v_mul_f32_e32 v153, s48, v153                              // 000000005738: 0B333230
	v_mfma_f32_16x16x16_bf16 v[56:59], a[98:99], a[10:11], v[56:59]// 00000000573C: D3E10038 1CE21562
	v_mul_f32_e32 v154, s48, v154                              // 000000005744: 0B353430
	v_mul_f32_e32 v155, s48, v155                              // 000000005748: 0B373630
	v_mfma_f32_16x16x16_bf16 v[56:59], a[100:101], a[12:13], v[56:59]// 00000000574C: D3E10038 1CE21964
	v_perm_b32 v148, v149, v148, s64                           // 000000005754: D1ED0094 01032995
	v_perm_b32 v149, v151, v150, s64                           // 00000000575C: D1ED0095 01032D97
	v_mfma_f32_16x16x16_bf16 v[56:59], a[102:103], a[14:15], v[56:59]// 000000005764: D3E10038 1CE21D66
	v_perm_b32 v150, v153, v152, s64                           // 00000000576C: D1ED0096 01033199
	v_perm_b32 v151, v155, v154, s64                           // 000000005774: D1ED0097 0103359B
	v_mfma_f32_16x16x16_bf16 v[60:63], a[96:97], a[16:17], 0   // 00000000577C: D3E1003C 1A022160
	ds_write_b64 v26, v[148:149] offset:31232                  // 000000005784: D89A7A00 0000941A
	v_mfma_f32_16x16x16_bf16 v[60:63], a[98:99], a[18:19], v[60:63]// 00000000578C: D3E1003C 1CF22562
	v_mfma_f32_16x16x16_bf16 v[60:63], a[100:101], a[20:21], v[60:63]// 000000005794: D3E1003C 1CF22964
	ds_write_b64 v26, v[150:151] offset:31776                  // 00000000579C: D89A7C20 0000961A
	v_mfma_f32_16x16x16_bf16 v[60:63], a[102:103], a[22:23], v[60:63]// 0000000057A4: D3E1003C 1CF22D66
	v_mfma_f32_16x16x16_bf16 v[64:67], a[104:105], a[0:1], 0   // 0000000057AC: D3E10040 1A020168
	ds_read_b128 v[124:127], v18 offset:13056                  // 0000000057B4: D9FE3300 7C000012
	ds_write_b32 v17, v40                                      // 0000000057BC: D81A0000 00002811
	v_mfma_f32_16x16x16_bf16 v[64:67], a[106:107], a[2:3], v[64:67]// 0000000057C4: D3E10040 1D02056A
	v_mfma_f32_16x16x16_bf16 v[64:67], a[108:109], a[4:5], v[64:67]// 0000000057CC: D3E10040 1D02096C
	v_mfma_f32_16x16x16_bf16 v[64:67], a[110:111], a[6:7], v[64:67]// 0000000057D4: D3E10040 1D020D6E
	ds_read_b128 v[128:131], v18 offset:13568                  // 0000000057DC: D9FE3500 80000012
	ds_write_b32 v17, v41 offset:1056                          // 0000000057E4: D81A0420 00002911
	v_mfma_f32_16x16x16_bf16 v[68:71], a[104:105], a[8:9], 0   // 0000000057EC: D3E10044 1A021168
	v_mfma_f32_16x16x16_bf16 v[68:71], a[106:107], a[10:11], v[68:71]// 0000000057F4: D3E10044 1D12156A
	v_mfma_f32_16x16x16_bf16 v[68:71], a[108:109], a[12:13], v[68:71]// 0000000057FC: D3E10044 1D12196C
	ds_read_b128 v[132:135], v18 offset:15232                  // 000000005804: D9FE3B80 84000012
	ds_write_b32 v17, v42 offset:2176                          // 00000000580C: D81A0880 00002A11
	v_mfma_f32_16x16x16_bf16 v[68:71], a[110:111], a[14:15], v[68:71]// 000000005814: D3E10044 1D121D6E
	v_mfma_f32_16x16x16_bf16 v[72:75], a[104:105], a[16:17], 0 // 00000000581C: D3E10048 1A022168
	v_mfma_f32_16x16x16_bf16 v[72:75], a[106:107], a[18:19], v[72:75]// 000000005824: D3E10048 1D22256A
	ds_read_b128 v[136:139], v18 offset:15744                  // 00000000582C: D9FE3D80 88000012
	ds_write_b32 v17, v43 offset:3232                          // 000000005834: D81A0CA0 00002B11
	v_mfma_f32_16x16x16_bf16 v[72:75], a[108:109], a[20:21], v[72:75]// 00000000583C: D3E10048 1D22296C
	v_mfma_f32_16x16x16_bf16 v[72:75], a[110:111], a[22:23], v[72:75]// 000000005844: D3E10048 1D222D6E
	s_cmp_lt_i32 s74, 12                                       // 00000000584C: BF048C4A
	s_cbranch_scc0 label_06FB                                  // 000000005850: BF8400E6
	s_mov_b32 s60, 0xffe0fffe                                  // 000000005854: BEBC00FF FFE0FFFE
	s_mov_b32 s61, 0xe000fe00                                  // 00000000585C: BEBD00FF E000FE00
	s_nop 0                                                    // 000000005864: BF800000
	s_add_u32 s62, 0, s47                                      // 000000005868: 803E2F80
	s_cmp_lt_i32 s74, s62                                      // 00000000586C: BF043E4A
	s_cbranch_scc1 label_0645                                  // 000000005870: BF850028
	s_cmp_eq_i32 s74, s62                                      // 000000005874: BF003E4A
	s_cbranch_scc1 label_062A                                  // 000000005878: BF85000B
	s_add_u32 s62, 4, s47                                      // 00000000587C: 803E2F84
	s_cmp_lt_i32 s74, s62                                      // 000000005880: BF043E4A
	s_cbranch_scc1 label_0665                                  // 000000005884: BF850043
	s_cmp_eq_i32 s74, s62                                      // 000000005888: BF003E4A
	s_cbranch_scc1 label_064A                                  // 00000000588C: BF850026
	s_add_u32 s62, 8, s47                                      // 000000005890: 803E2F88
	s_cmp_lt_i32 s74, s62                                      // 000000005894: BF043E4A
	s_cbranch_scc1 label_0685                                  // 000000005898: BF85005E
	s_cmp_eq_i32 s74, s62                                      // 00000000589C: BF003E4A
	s_cbranch_scc1 label_066A                                  // 0000000058A0: BF850041
	s_branch label_068A                                        // 0000000058A4: BF820060

00000000000058a8 <label_062A>:
	v_cndmask_b32_e64 v52, v52, v178, s[60:61]                 // 0000000058A8: D1000034 00F36534
	s_lshl_b32 s60, s60, 1                                     // 0000000058B0: 8E3C813C
	s_lshl_b32 s61, s61, 1                                     // 0000000058B4: 8E3D813D
	s_and_b32 s60, 0xfffeffff, s60                             // 0000000058B8: 863C3CFF FFFEFFFF
	s_and_b32 s61, 0xfffeffff, s61                             // 0000000058C0: 863D3DFF FFFEFFFF
	v_cndmask_b32_e64 v53, v53, v178, s[60:61]                 // 0000000058C8: D1000035 00F36535
	s_lshl_b32 s60, s60, 1                                     // 0000000058D0: 8E3C813C
	s_lshl_b32 s61, s61, 1                                     // 0000000058D4: 8E3D813D
	s_and_b32 s60, 0xfffeffff, s60                             // 0000000058D8: 863C3CFF FFFEFFFF
	s_and_b32 s61, 0xfffeffff, s61                             // 0000000058E0: 863D3DFF FFFEFFFF
	v_cndmask_b32_e64 v54, v54, v178, s[60:61]                 // 0000000058E8: D1000036 00F36536
	s_lshl_b32 s60, s60, 1                                     // 0000000058F0: 8E3C813C
	s_lshl_b32 s61, s61, 1                                     // 0000000058F4: 8E3D813D
	s_and_b32 s60, 0xfffeffff, s60                             // 0000000058F8: 863C3CFF FFFEFFFF
	s_and_b32 s61, 0xfffeffff, s61                             // 000000005900: 863D3DFF FFFEFFFF
	v_cndmask_b32_e64 v55, v55, v178, s[60:61]                 // 000000005908: D1000037 00F36537
	s_branch label_0665                                        // 000000005910: BF820020

0000000000005914 <label_0645>:
	v_mov_b32_e32 v52, v178                                    // 000000005914: 7E6803B2
	v_mov_b32_e32 v53, v178                                    // 000000005918: 7E6A03B2
	v_mov_b32_e32 v54, v178                                    // 00000000591C: 7E6C03B2
	v_mov_b32_e32 v55, v178                                    // 000000005920: 7E6E03B2
	s_branch label_0665                                        // 000000005924: BF82001B

0000000000005928 <label_064A>:
	v_cndmask_b32_e64 v56, v56, v178, s[60:61]                 // 000000005928: D1000038 00F36538
	s_lshl_b32 s60, s60, 1                                     // 000000005930: 8E3C813C
	s_lshl_b32 s61, s61, 1                                     // 000000005934: 8E3D813D
	s_and_b32 s60, 0xfffeffff, s60                             // 000000005938: 863C3CFF FFFEFFFF
	s_and_b32 s61, 0xfffeffff, s61                             // 000000005940: 863D3DFF FFFEFFFF
	v_cndmask_b32_e64 v57, v57, v178, s[60:61]                 // 000000005948: D1000039 00F36539
	s_lshl_b32 s60, s60, 1                                     // 000000005950: 8E3C813C
	s_lshl_b32 s61, s61, 1                                     // 000000005954: 8E3D813D
	s_and_b32 s60, 0xfffeffff, s60                             // 000000005958: 863C3CFF FFFEFFFF
	s_and_b32 s61, 0xfffeffff, s61                             // 000000005960: 863D3DFF FFFEFFFF
	v_cndmask_b32_e64 v58, v58, v178, s[60:61]                 // 000000005968: D100003A 00F3653A
	s_lshl_b32 s60, s60, 1                                     // 000000005970: 8E3C813C
	s_lshl_b32 s61, s61, 1                                     // 000000005974: 8E3D813D
	s_and_b32 s60, 0xfffeffff, s60                             // 000000005978: 863C3CFF FFFEFFFF
	s_and_b32 s61, 0xfffeffff, s61                             // 000000005980: 863D3DFF FFFEFFFF
	v_cndmask_b32_e64 v59, v59, v178, s[60:61]                 // 000000005988: D100003B 00F3653B
	s_branch label_0685                                        // 000000005990: BF820020

0000000000005994 <label_0665>:
	v_mov_b32_e32 v56, v178                                    // 000000005994: 7E7003B2
	v_mov_b32_e32 v57, v178                                    // 000000005998: 7E7203B2
	v_mov_b32_e32 v58, v178                                    // 00000000599C: 7E7403B2
	v_mov_b32_e32 v59, v178                                    // 0000000059A0: 7E7603B2
	s_branch label_0685                                        // 0000000059A4: BF82001B

00000000000059a8 <label_066A>:
	v_cndmask_b32_e64 v60, v60, v178, s[60:61]                 // 0000000059A8: D100003C 00F3653C
	s_lshl_b32 s60, s60, 1                                     // 0000000059B0: 8E3C813C
	s_lshl_b32 s61, s61, 1                                     // 0000000059B4: 8E3D813D
	s_and_b32 s60, 0xfffeffff, s60                             // 0000000059B8: 863C3CFF FFFEFFFF
	s_and_b32 s61, 0xfffeffff, s61                             // 0000000059C0: 863D3DFF FFFEFFFF
	v_cndmask_b32_e64 v61, v61, v178, s[60:61]                 // 0000000059C8: D100003D 00F3653D
	s_lshl_b32 s60, s60, 1                                     // 0000000059D0: 8E3C813C
	s_lshl_b32 s61, s61, 1                                     // 0000000059D4: 8E3D813D
	s_and_b32 s60, 0xfffeffff, s60                             // 0000000059D8: 863C3CFF FFFEFFFF
	s_and_b32 s61, 0xfffeffff, s61                             // 0000000059E0: 863D3DFF FFFEFFFF
	v_cndmask_b32_e64 v62, v62, v178, s[60:61]                 // 0000000059E8: D100003E 00F3653E
	s_lshl_b32 s60, s60, 1                                     // 0000000059F0: 8E3C813C
	s_lshl_b32 s61, s61, 1                                     // 0000000059F4: 8E3D813D
	s_and_b32 s60, 0xfffeffff, s60                             // 0000000059F8: 863C3CFF FFFEFFFF
	s_and_b32 s61, 0xfffeffff, s61                             // 000000005A00: 863D3DFF FFFEFFFF
	v_cndmask_b32_e64 v63, v63, v178, s[60:61]                 // 000000005A08: D100003F 00F3653F
	s_branch label_068A                                        // 000000005A10: BF820005

0000000000005a14 <label_0685>:
	v_mov_b32_e32 v60, v178                                    // 000000005A14: 7E7803B2
	v_mov_b32_e32 v61, v178                                    // 000000005A18: 7E7A03B2
	v_mov_b32_e32 v62, v178                                    // 000000005A1C: 7E7C03B2
	v_mov_b32_e32 v63, v178                                    // 000000005A20: 7E7E03B2
	s_branch label_068A                                        // 000000005A24: BF820000

0000000000005a28 <label_068A>:
	s_addk_i32 s74, 0x1                                        // 000000005A28: B74A0001
	s_add_u32 s62, 0, s47                                      // 000000005A2C: 803E2F80
	s_cmp_lt_i32 s74, s62                                      // 000000005A30: BF043E4A
	s_cbranch_scc1 label_06B6                                  // 000000005A34: BF850028
	s_cmp_eq_i32 s74, s62                                      // 000000005A38: BF003E4A
	s_cbranch_scc1 label_069B                                  // 000000005A3C: BF85000B
	s_add_u32 s62, 4, s47                                      // 000000005A40: 803E2F84
	s_cmp_lt_i32 s74, s62                                      // 000000005A44: BF043E4A
	s_cbranch_scc1 label_06D6                                  // 000000005A48: BF850043
	s_cmp_eq_i32 s74, s62                                      // 000000005A4C: BF003E4A
	s_cbranch_scc1 label_06BB                                  // 000000005A50: BF850026
	s_add_u32 s62, 8, s47                                      // 000000005A54: 803E2F88
	s_cmp_lt_i32 s74, s62                                      // 000000005A58: BF043E4A
	s_cbranch_scc1 label_06F6                                  // 000000005A5C: BF85005E
	s_cmp_eq_i32 s74, s62                                      // 000000005A60: BF003E4A
	s_cbranch_scc1 label_06DB                                  // 000000005A64: BF850041
	s_branch label_06FB                                        // 000000005A68: BF820060

0000000000005a6c <label_069B>:
	v_cndmask_b32_e64 v64, v64, v178, s[60:61]                 // 000000005A6C: D1000040 00F36540
	s_lshl_b32 s60, s60, 1                                     // 000000005A74: 8E3C813C
	s_lshl_b32 s61, s61, 1                                     // 000000005A78: 8E3D813D
	s_and_b32 s60, 0xfffeffff, s60                             // 000000005A7C: 863C3CFF FFFEFFFF
	s_and_b32 s61, 0xfffeffff, s61                             // 000000005A84: 863D3DFF FFFEFFFF
	v_cndmask_b32_e64 v65, v65, v178, s[60:61]                 // 000000005A8C: D1000041 00F36541
	s_lshl_b32 s60, s60, 1                                     // 000000005A94: 8E3C813C
	s_lshl_b32 s61, s61, 1                                     // 000000005A98: 8E3D813D
	s_and_b32 s60, 0xfffeffff, s60                             // 000000005A9C: 863C3CFF FFFEFFFF
	s_and_b32 s61, 0xfffeffff, s61                             // 000000005AA4: 863D3DFF FFFEFFFF
	v_cndmask_b32_e64 v66, v66, v178, s[60:61]                 // 000000005AAC: D1000042 00F36542
	s_lshl_b32 s60, s60, 1                                     // 000000005AB4: 8E3C813C
	s_lshl_b32 s61, s61, 1                                     // 000000005AB8: 8E3D813D
	s_and_b32 s60, 0xfffeffff, s60                             // 000000005ABC: 863C3CFF FFFEFFFF
	s_and_b32 s61, 0xfffeffff, s61                             // 000000005AC4: 863D3DFF FFFEFFFF
	v_cndmask_b32_e64 v67, v67, v178, s[60:61]                 // 000000005ACC: D1000043 00F36543
	s_branch label_06D6                                        // 000000005AD4: BF820020

0000000000005ad8 <label_06B6>:
	v_mov_b32_e32 v64, v178                                    // 000000005AD8: 7E8003B2
	v_mov_b32_e32 v65, v178                                    // 000000005ADC: 7E8203B2
	v_mov_b32_e32 v66, v178                                    // 000000005AE0: 7E8403B2
	v_mov_b32_e32 v67, v178                                    // 000000005AE4: 7E8603B2
	s_branch label_06D6                                        // 000000005AE8: BF82001B

0000000000005aec <label_06BB>:
	v_cndmask_b32_e64 v68, v68, v178, s[60:61]                 // 000000005AEC: D1000044 00F36544
	s_lshl_b32 s60, s60, 1                                     // 000000005AF4: 8E3C813C
	s_lshl_b32 s61, s61, 1                                     // 000000005AF8: 8E3D813D
	s_and_b32 s60, 0xfffeffff, s60                             // 000000005AFC: 863C3CFF FFFEFFFF
	s_and_b32 s61, 0xfffeffff, s61                             // 000000005B04: 863D3DFF FFFEFFFF
	v_cndmask_b32_e64 v69, v69, v178, s[60:61]                 // 000000005B0C: D1000045 00F36545
	s_lshl_b32 s60, s60, 1                                     // 000000005B14: 8E3C813C
	s_lshl_b32 s61, s61, 1                                     // 000000005B18: 8E3D813D
	s_and_b32 s60, 0xfffeffff, s60                             // 000000005B1C: 863C3CFF FFFEFFFF
	s_and_b32 s61, 0xfffeffff, s61                             // 000000005B24: 863D3DFF FFFEFFFF
	v_cndmask_b32_e64 v70, v70, v178, s[60:61]                 // 000000005B2C: D1000046 00F36546
	s_lshl_b32 s60, s60, 1                                     // 000000005B34: 8E3C813C
	s_lshl_b32 s61, s61, 1                                     // 000000005B38: 8E3D813D
	s_and_b32 s60, 0xfffeffff, s60                             // 000000005B3C: 863C3CFF FFFEFFFF
	s_and_b32 s61, 0xfffeffff, s61                             // 000000005B44: 863D3DFF FFFEFFFF
	v_cndmask_b32_e64 v71, v71, v178, s[60:61]                 // 000000005B4C: D1000047 00F36547
	s_branch label_06F6                                        // 000000005B54: BF820020

0000000000005b58 <label_06D6>:
	v_mov_b32_e32 v68, v178                                    // 000000005B58: 7E8803B2
	v_mov_b32_e32 v69, v178                                    // 000000005B5C: 7E8A03B2
	v_mov_b32_e32 v70, v178                                    // 000000005B60: 7E8C03B2
	v_mov_b32_e32 v71, v178                                    // 000000005B64: 7E8E03B2
	s_branch label_06F6                                        // 000000005B68: BF82001B

0000000000005b6c <label_06DB>:
	v_cndmask_b32_e64 v72, v72, v178, s[60:61]                 // 000000005B6C: D1000048 00F36548
	s_lshl_b32 s60, s60, 1                                     // 000000005B74: 8E3C813C
	s_lshl_b32 s61, s61, 1                                     // 000000005B78: 8E3D813D
	s_and_b32 s60, 0xfffeffff, s60                             // 000000005B7C: 863C3CFF FFFEFFFF
	s_and_b32 s61, 0xfffeffff, s61                             // 000000005B84: 863D3DFF FFFEFFFF
	v_cndmask_b32_e64 v73, v73, v178, s[60:61]                 // 000000005B8C: D1000049 00F36549
	s_lshl_b32 s60, s60, 1                                     // 000000005B94: 8E3C813C
	s_lshl_b32 s61, s61, 1                                     // 000000005B98: 8E3D813D
	s_and_b32 s60, 0xfffeffff, s60                             // 000000005B9C: 863C3CFF FFFEFFFF
	s_and_b32 s61, 0xfffeffff, s61                             // 000000005BA4: 863D3DFF FFFEFFFF
	v_cndmask_b32_e64 v74, v74, v178, s[60:61]                 // 000000005BAC: D100004A 00F3654A
	s_lshl_b32 s60, s60, 1                                     // 000000005BB4: 8E3C813C
	s_lshl_b32 s61, s61, 1                                     // 000000005BB8: 8E3D813D
	s_and_b32 s60, 0xfffeffff, s60                             // 000000005BBC: 863C3CFF FFFEFFFF
	s_and_b32 s61, 0xfffeffff, s61                             // 000000005BC4: 863D3DFF FFFEFFFF
	v_cndmask_b32_e64 v75, v75, v178, s[60:61]                 // 000000005BCC: D100004B 00F3654B
	s_branch label_06FB                                        // 000000005BD4: BF820005

0000000000005bd8 <label_06F6>:
	v_mov_b32_e32 v72, v178                                    // 000000005BD8: 7E9003B2
	v_mov_b32_e32 v73, v178                                    // 000000005BDC: 7E9203B2
	v_mov_b32_e32 v74, v178                                    // 000000005BE0: 7E9403B2
	v_mov_b32_e32 v75, v178                                    // 000000005BE4: 7E9603B2
	s_branch label_06FB                                        // 000000005BE8: BF820000

0000000000005bec <label_06FB>:
	s_addk_i32 s74, 0x1                                        // 000000005BEC: B74A0001
	s_waitcnt lgkmcnt(8)                                       // 000000005BF0: BF8CC87F
	s_barrier                                                  // 000000005BF4: BF8A0000
	v_mfma_f32_16x16x16_bf16 v[76:79], v[108:109], a[72:73], 0 // 000000005BF8: D3E1004C 1202916C
	ds_read_b128 a[96:99], v18 offset:4352                     // 000000005C00: DBFE1100 60000012
	ds_read_b128 a[100:103], v18 offset:4864                   // 000000005C08: DBFE1300 64000012
	v_mfma_f32_16x16x16_bf16 v[76:79], v[110:111], a[74:75], v[76:79]// 000000005C10: D3E1004C 1532956E
	v_fma_f32 v52, v52, s57, -v140                             // 000000005C18: D1CB0034 86307334
	v_fma_f32 v53, v53, s57, -v141                             // 000000005C20: D1CB0035 86347335
	v_fma_f32 v54, v54, s57, -v142                             // 000000005C28: D1CB0036 86387336
	v_fma_f32 v55, v55, s57, -v143                             // 000000005C30: D1CB0037 863C7337
	v_fma_f32 v56, v56, s57, -v140                             // 000000005C38: D1CB0038 86307338
	v_fma_f32 v57, v57, s57, -v141                             // 000000005C40: D1CB0039 86347339
	v_mfma_f32_16x16x16_bf16 v[76:79], v[112:113], a[76:77], v[76:79]// 000000005C48: D3E1004C 15329970
	v_fma_f32 v58, v58, s57, -v142                             // 000000005C50: D1CB003A 8638733A
	v_fma_f32 v59, v59, s57, -v143                             // 000000005C58: D1CB003B 863C733B
	v_fma_f32 v60, v60, s57, -v140                             // 000000005C60: D1CB003C 8630733C
	v_fma_f32 v61, v61, s57, -v141                             // 000000005C68: D1CB003D 8634733D
	v_fma_f32 v62, v62, s57, -v142                             // 000000005C70: D1CB003E 8638733E
	v_fma_f32 v63, v63, s57, -v143                             // 000000005C78: D1CB003F 863C733F
	v_mfma_f32_16x16x16_bf16 v[76:79], v[114:115], a[78:79], v[76:79]// 000000005C80: D3E1004C 15329D72
	v_fma_f32 v64, v64, s57, -v144                             // 000000005C88: D1CB0040 86407340
	v_fma_f32 v65, v65, s57, -v145                             // 000000005C90: D1CB0041 86447341
	v_fma_f32 v66, v66, s57, -v146                             // 000000005C98: D1CB0042 86487342
	v_fma_f32 v67, v67, s57, -v147                             // 000000005CA0: D1CB0043 864C7343
	v_fma_f32 v68, v68, s57, -v144                             // 000000005CA8: D1CB0044 86407344
	v_fma_f32 v69, v69, s57, -v145                             // 000000005CB0: D1CB0045 86447345
	v_mfma_f32_16x16x16_bf16 v[80:83], v[108:109], a[80:81], 0 // 000000005CB8: D3E10050 1202A16C
	ds_read_b128 a[104:107], v18 offset:6528                   // 000000005CC0: DBFE1980 68000012
	ds_read_b128 a[108:111], v18 offset:7040                   // 000000005CC8: DBFE1B80 6C000012
	v_mfma_f32_16x16x16_bf16 v[80:83], v[110:111], a[82:83], v[80:83]// 000000005CD0: D3E10050 1542A56E
	v_fma_f32 v70, v70, s57, -v146                             // 000000005CD8: D1CB0046 86487346
	v_fma_f32 v71, v71, s57, -v147                             // 000000005CE0: D1CB0047 864C7347
	v_fma_f32 v72, v72, s57, -v144                             // 000000005CE8: D1CB0048 86407348
	v_fma_f32 v73, v73, s57, -v145                             // 000000005CF0: D1CB0049 86447349
	v_fma_f32 v74, v74, s57, -v146                             // 000000005CF8: D1CB004A 8648734A
	v_fma_f32 v75, v75, s57, -v147                             // 000000005D00: D1CB004B 864C734B
	v_mfma_f32_16x16x16_bf16 v[80:83], v[112:113], a[84:85], v[80:83]// 000000005D08: D3E10050 1542A970
	v_exp_f32_e32 v52, v52                                     // 000000005D10: 7E684134
	v_exp_f32_e32 v53, v53                                     // 000000005D14: 7E6A4135
	v_mfma_f32_16x16x16_bf16 v[80:83], v[114:115], a[86:87], v[80:83]// 000000005D18: D3E10050 1542AD72
	v_exp_f32_e32 v54, v54                                     // 000000005D20: 7E6C4136
	v_exp_f32_e32 v55, v55                                     // 000000005D24: 7E6E4137
	v_mfma_f32_16x16x16_bf16 v[84:87], v[108:109], a[88:89], 0 // 000000005D28: D3E10054 1202B16C
	ds_read_b32 v156, v25 offset:31232                         // 000000005D30: D86C7A00 9C000019
	ds_read_b32 v157, v25 offset:31248                         // 000000005D38: D86C7A10 9D000019
	v_mfma_f32_16x16x16_bf16 v[84:87], v[110:111], a[90:91], v[84:87]// 000000005D40: D3E10054 1552B56E
	v_exp_f32_e32 v56, v56                                     // 000000005D48: 7E704138
	v_exp_f32_e32 v57, v57                                     // 000000005D4C: 7E724139
	v_mfma_f32_16x16x16_bf16 v[84:87], v[112:113], a[92:93], v[84:87]// 000000005D50: D3E10054 1552B970
	ds_read_b32 v158, v25 offset:31264                         // 000000005D58: D86C7A20 9E000019
	ds_read_b32 v159, v25 offset:31280                         // 000000005D60: D86C7A30 9F000019
	v_mfma_f32_16x16x16_bf16 v[84:87], v[114:115], a[94:95], v[84:87]// 000000005D68: D3E10054 1552BD72
	v_exp_f32_e32 v58, v58                                     // 000000005D70: 7E74413A
	v_exp_f32_e32 v59, v59                                     // 000000005D74: 7E76413B
	v_mfma_f32_16x16x16_bf16 v[88:91], v[116:117], a[72:73], 0 // 000000005D78: D3E10058 12029174
	v_exp_f32_e32 v60, v60                                     // 000000005D80: 7E78413C
	v_exp_f32_e32 v61, v61                                     // 000000005D84: 7E7A413D
	v_mfma_f32_16x16x16_bf16 v[88:91], v[118:119], a[74:75], v[88:91]// 000000005D88: D3E10058 15629576
	v_exp_f32_e32 v62, v62                                     // 000000005D90: 7E7C413E
	v_exp_f32_e32 v63, v63                                     // 000000005D94: 7E7E413F
	v_mfma_f32_16x16x16_bf16 v[88:91], v[120:121], a[76:77], v[88:91]// 000000005D98: D3E10058 15629978
	v_exp_f32_e32 v64, v64                                     // 000000005DA0: 7E804140
	v_exp_f32_e32 v65, v65                                     // 000000005DA4: 7E824141
	v_mfma_f32_16x16x16_bf16 v[88:91], v[122:123], a[78:79], v[88:91]// 000000005DA8: D3E10058 15629D7A
	v_exp_f32_e32 v66, v66                                     // 000000005DB0: 7E844142
	v_exp_f32_e32 v67, v67                                     // 000000005DB4: 7E864143
	v_mfma_f32_16x16x16_bf16 v[92:95], v[116:117], a[80:81], 0 // 000000005DB8: D3E1005C 1202A174
	v_exp_f32_e32 v68, v68                                     // 000000005DC0: 7E884144
	v_exp_f32_e32 v69, v69                                     // 000000005DC4: 7E8A4145
	v_mfma_f32_16x16x16_bf16 v[92:95], v[118:119], a[82:83], v[92:95]// 000000005DC8: D3E1005C 1572A576
	v_exp_f32_e32 v70, v70                                     // 000000005DD0: 7E8C4146
	v_exp_f32_e32 v71, v71                                     // 000000005DD4: 7E8E4147
	v_mfma_f32_16x16x16_bf16 v[92:95], v[120:121], a[84:85], v[92:95]// 000000005DD8: D3E1005C 1572A978
	v_exp_f32_e32 v72, v72                                     // 000000005DE0: 7E904148
	v_exp_f32_e32 v73, v73                                     // 000000005DE4: 7E924149
	v_mfma_f32_16x16x16_bf16 v[92:95], v[122:123], a[86:87], v[92:95]// 000000005DE8: D3E1005C 1572AD7A
	v_exp_f32_e32 v74, v74                                     // 000000005DF0: 7E94414A
	v_exp_f32_e32 v75, v75                                     // 000000005DF4: 7E96414B
	v_mfma_f32_16x16x16_bf16 v[96:99], v[116:117], a[88:89], 0 // 000000005DF8: D3E10060 1202B174
	v_perm_b32 v164, v53, v52, s64                             // 000000005E00: D1ED00A4 01026935
	v_perm_b32 v165, v55, v54, s64                             // 000000005E08: D1ED00A5 01026D37
	v_perm_b32 v166, v57, v56, s64                             // 000000005E10: D1ED00A6 01027139
	v_perm_b32 v167, v59, v58, s64                             // 000000005E18: D1ED00A7 0102753B
	v_perm_b32 v168, v61, v60, s64                             // 000000005E20: D1ED00A8 0102793D
	v_perm_b32 v169, v63, v62, s64                             // 000000005E28: D1ED00A9 01027D3F
	v_mfma_f32_16x16x16_bf16 v[96:99], v[118:119], a[90:91], v[96:99]// 000000005E30: D3E10060 1582B576
	v_perm_b32 v170, v65, v64, s64                             // 000000005E38: D1ED00AA 01028141
	v_perm_b32 v171, v67, v66, s64                             // 000000005E40: D1ED00AB 01028543
	v_perm_b32 v172, v69, v68, s64                             // 000000005E48: D1ED00AC 01028945
	v_perm_b32 v173, v71, v70, s64                             // 000000005E50: D1ED00AD 01028D47
	v_perm_b32 v174, v73, v72, s64                             // 000000005E58: D1ED00AE 01029149
	v_perm_b32 v175, v75, v74, s64                             // 000000005E60: D1ED00AF 0102954B
	v_mfma_f32_16x16x16_bf16 v[96:99], v[120:121], a[92:93], v[96:99]// 000000005E68: D3E10060 1582B978
	s_add_u32 s32, s66, s32                                    // 000000005E70: 80202042
	s_addc_u32 s33, 0, s33                                     // 000000005E74: 82212180
	v_mfma_f32_16x16x16_bf16 v[96:99], v[122:123], a[94:95], v[96:99]// 000000005E78: D3E10060 1582BD7A
	s_waitcnt lgkmcnt(0)                                       // 000000005E80: BF8CC07F
	s_barrier                                                  // 000000005E84: BF8A0000
	v_mfma_f32_16x16x16_bf16 v[180:183], v[124:125], v[164:165], v[180:183]// 000000005E88: D3E100B4 06D3497C
	v_subrev_f32_dpp v76, v176, v76 quad_perm:[0,0,0,0] row_mask:0xf bank_mask:0xf// 000000005E90: 069898FA FF0000B0
	v_subrev_f32_dpp v77, v176, v77 quad_perm:[1,1,1,1] row_mask:0xf bank_mask:0xf// 000000005E98: 069A9AFA FF0055B0
	v_subrev_f32_dpp v78, v176, v78 quad_perm:[2,2,2,2] row_mask:0xf bank_mask:0xf// 000000005EA0: 069C9CFA FF00AAB0
	v_subrev_f32_dpp v79, v176, v79 quad_perm:[3,3,3,3] row_mask:0xf bank_mask:0xf// 000000005EA8: 069E9EFA FF00FFB0
	v_subrev_f32_dpp v80, v176, v80 quad_perm:[0,0,0,0] row_mask:0xf bank_mask:0xf// 000000005EB0: 06A0A0FA FF0000B0
	v_subrev_f32_dpp v81, v176, v81 quad_perm:[1,1,1,1] row_mask:0xf bank_mask:0xf// 000000005EB8: 06A2A2FA FF0055B0
	v_mfma_f32_16x16x16_bf16 v[184:187], v[126:127], v[164:165], v[184:187]// 000000005EC0: D3E100B8 06E3497E
	v_subrev_f32_dpp v82, v176, v82 quad_perm:[2,2,2,2] row_mask:0xf bank_mask:0xf// 000000005EC8: 06A4A4FA FF00AAB0
	v_subrev_f32_dpp v83, v176, v83 quad_perm:[3,3,3,3] row_mask:0xf bank_mask:0xf// 000000005ED0: 06A6A6FA FF00FFB0
	v_subrev_f32_dpp v84, v176, v84 quad_perm:[0,0,0,0] row_mask:0xf bank_mask:0xf// 000000005ED8: 06A8A8FA FF0000B0
	v_subrev_f32_dpp v85, v176, v85 quad_perm:[1,1,1,1] row_mask:0xf bank_mask:0xf// 000000005EE0: 06AAAAFA FF0055B0
	v_subrev_f32_dpp v86, v176, v86 quad_perm:[2,2,2,2] row_mask:0xf bank_mask:0xf// 000000005EE8: 06ACACFA FF00AAB0
	v_subrev_f32_dpp v87, v176, v87 quad_perm:[3,3,3,3] row_mask:0xf bank_mask:0xf// 000000005EF0: 06AEAEFA FF00FFB0
	v_mfma_f32_16x16x16_bf16 v[188:191], v[128:129], v[164:165], v[188:191]// 000000005EF8: D3E100BC 06F34980
	v_mul_f32_e32 v76, v52, v76                                // 000000005F00: 0A989934
	v_mul_f32_e32 v77, v53, v77                                // 000000005F04: 0A9A9B35
	v_mul_f32_e32 v78, v54, v78                                // 000000005F08: 0A9C9D36
	v_mul_f32_e32 v79, v55, v79                                // 000000005F0C: 0A9E9F37
	v_mul_f32_e32 v80, v56, v80                                // 000000005F10: 0AA0A138
	v_mul_f32_e32 v81, v57, v81                                // 000000005F14: 0AA2A339
	v_mfma_f32_16x16x16_bf16 v[192:195], v[130:131], v[164:165], v[192:195]// 000000005F18: D3E100C0 07034982
	v_mul_f32_e32 v82, v58, v82                                // 000000005F20: 0AA4A53A
	v_mul_f32_e32 v83, v59, v83                                // 000000005F24: 0AA6A73B
	v_mul_f32_e32 v84, v60, v84                                // 000000005F28: 0AA8A93C
	v_mul_f32_e32 v85, v61, v85                                // 000000005F2C: 0AAAAB3D
	v_mul_f32_e32 v86, v62, v86                                // 000000005F30: 0AACAD3E
	v_mul_f32_e32 v87, v63, v87                                // 000000005F34: 0AAEAF3F
	v_mfma_f32_16x16x16_bf16 v[196:199], v[124:125], v[166:167], v[196:199]// 000000005F38: D3E100C4 07134D7C
	v_perm_b32 v76, v77, v76, s64                              // 000000005F40: D1ED004C 0102994D
	v_perm_b32 v77, v79, v78, s64                              // 000000005F48: D1ED004D 01029D4F
	v_perm_b32 v78, v81, v80, s64                              // 000000005F50: D1ED004E 0102A151
	v_perm_b32 v79, v83, v82, s64                              // 000000005F58: D1ED004F 0102A553
	v_perm_b32 v80, v85, v84, s64                              // 000000005F60: D1ED0050 0102A955
	v_perm_b32 v81, v87, v86, s64                              // 000000005F68: D1ED0051 0102AD57
	v_mfma_f32_16x16x16_bf16 v[200:203], v[126:127], v[166:167], v[200:203]// 000000005F70: D3E100C8 07234D7E
	v_mov_b32_dpp v22, v76 quad_perm:[1,0,3,2] row_mask:0xf bank_mask:0xf// 000000005F78: 7E2C02FA FF00B14C
	v_perm_b32 v52, v22, v76, v21                              // 000000005F80: D1ED0034 04569916
	v_mov_b32_dpp v22, v77 quad_perm:[1,0,3,2] row_mask:0xf bank_mask:0xf// 000000005F88: 7E2C02FA FF00B14D
	v_perm_b32 v53, v22, v77, v21                              // 000000005F90: D1ED0035 04569B16
	v_mov_b32_dpp v22, v78 quad_perm:[1,0,3,2] row_mask:0xf bank_mask:0xf// 000000005F98: 7E2C02FA FF00B14E
	v_perm_b32 v54, v22, v78, v21                              // 000000005FA0: D1ED0036 04569D16
	v_mfma_f32_16x16x16_bf16 v[204:207], v[128:129], v[166:167], v[204:207]// 000000005FA8: D3E100CC 07334D80
	v_mov_b32_dpp v22, v79 quad_perm:[1,0,3,2] row_mask:0xf bank_mask:0xf// 000000005FB0: 7E2C02FA FF00B14F
	v_perm_b32 v55, v22, v79, v21                              // 000000005FB8: D1ED0037 04569F16
	v_mov_b32_dpp v22, v80 quad_perm:[1,0,3,2] row_mask:0xf bank_mask:0xf// 000000005FC0: 7E2C02FA FF00B150
	v_perm_b32 v56, v22, v80, v21                              // 000000005FC8: D1ED0038 0456A116
	v_mov_b32_dpp v22, v81 quad_perm:[1,0,3,2] row_mask:0xf bank_mask:0xf// 000000005FD0: 7E2C02FA FF00B151
	v_perm_b32 v57, v22, v81, v21                              // 000000005FD8: D1ED0039 0456A316
	v_mfma_f32_16x16x16_bf16 v[208:211], v[130:131], v[166:167], v[208:211]// 000000005FE0: D3E100D0 07434D82
	ds_write_b32 v24, v52 offset:17408                         // 000000005FE8: D81A4400 00003418
	ds_write_b32 v24, v53 offset:17952                         // 000000005FF0: D81A4620 00003518
	v_mfma_f32_16x16x16_bf16 v[212:215], v[124:125], v[168:169], v[212:215]// 000000005FF8: D3E100D4 0753517C
	v_subrev_f32_dpp v88, v177, v88 quad_perm:[0,0,0,0] row_mask:0xf bank_mask:0xf// 000000006000: 06B0B0FA FF0000B1
	v_subrev_f32_dpp v89, v177, v89 quad_perm:[1,1,1,1] row_mask:0xf bank_mask:0xf// 000000006008: 06B2B2FA FF0055B1
	v_subrev_f32_dpp v90, v177, v90 quad_perm:[2,2,2,2] row_mask:0xf bank_mask:0xf// 000000006010: 06B4B4FA FF00AAB1
	v_subrev_f32_dpp v91, v177, v91 quad_perm:[3,3,3,3] row_mask:0xf bank_mask:0xf// 000000006018: 06B6B6FA FF00FFB1
	v_subrev_f32_dpp v92, v177, v92 quad_perm:[0,0,0,0] row_mask:0xf bank_mask:0xf// 000000006020: 06B8B8FA FF0000B1
	v_subrev_f32_dpp v93, v177, v93 quad_perm:[1,1,1,1] row_mask:0xf bank_mask:0xf// 000000006028: 06BABAFA FF0055B1
	v_mfma_f32_16x16x16_bf16 v[216:219], v[126:127], v[168:169], v[216:219]// 000000006030: D3E100D8 0763517E
	ds_write_b32 v24, v54 offset:19712                         // 000000006038: D81A4D00 00003618
	ds_write_b32 v24, v55 offset:20256                         // 000000006040: D81A4F20 00003718
	v_mfma_f32_16x16x16_bf16 v[220:223], v[128:129], v[168:169], v[220:223]// 000000006048: D3E100DC 07735180
	v_subrev_f32_dpp v94, v177, v94 quad_perm:[2,2,2,2] row_mask:0xf bank_mask:0xf// 000000006050: 06BCBCFA FF00AAB1
	v_subrev_f32_dpp v95, v177, v95 quad_perm:[3,3,3,3] row_mask:0xf bank_mask:0xf// 000000006058: 06BEBEFA FF00FFB1
	v_subrev_f32_dpp v96, v177, v96 quad_perm:[0,0,0,0] row_mask:0xf bank_mask:0xf// 000000006060: 06C0C0FA FF0000B1
	v_subrev_f32_dpp v97, v177, v97 quad_perm:[1,1,1,1] row_mask:0xf bank_mask:0xf// 000000006068: 06C2C2FA FF0055B1
	v_subrev_f32_dpp v98, v177, v98 quad_perm:[2,2,2,2] row_mask:0xf bank_mask:0xf// 000000006070: 06C4C4FA FF00AAB1
	v_subrev_f32_dpp v99, v177, v99 quad_perm:[3,3,3,3] row_mask:0xf bank_mask:0xf// 000000006078: 06C6C6FA FF00FFB1
	v_mfma_f32_16x16x16_bf16 v[224:227], v[130:131], v[168:169], v[224:227]// 000000006080: D3E100E0 07835182
	ds_write_b32 v24, v56 offset:22016                         // 000000006088: D81A5600 00003818
	ds_write_b32 v24, v57 offset:22560                         // 000000006090: D81A5820 00003918
	v_mfma_f32_16x16x16_bf16 v[180:183], v[132:133], v[170:171], v[180:183]// 000000006098: D3E100B4 06D35584
	v_mul_f32_e32 v88, v64, v88                                // 0000000060A0: 0AB0B140
	v_mul_f32_e32 v89, v65, v89                                // 0000000060A4: 0AB2B341
	v_mul_f32_e32 v90, v66, v90                                // 0000000060A8: 0AB4B542
	v_mul_f32_e32 v91, v67, v91                                // 0000000060AC: 0AB6B743
	v_mul_f32_e32 v92, v68, v92                                // 0000000060B0: 0AB8B944
	v_mul_f32_e32 v93, v69, v93                                // 0000000060B4: 0ABABB45
	v_mfma_f32_16x16x16_bf16 v[184:187], v[134:135], v[170:171], v[184:187]// 0000000060B8: D3E100B8 06E35586
	v_mul_f32_e32 v94, v70, v94                                // 0000000060C0: 0ABCBD46
	v_mul_f32_e32 v95, v71, v95                                // 0000000060C4: 0ABEBF47
	v_mul_f32_e32 v96, v72, v96                                // 0000000060C8: 0AC0C148
	v_mul_f32_e32 v97, v73, v97                                // 0000000060CC: 0AC2C349
	v_mul_f32_e32 v98, v74, v98                                // 0000000060D0: 0AC4C54A
	v_mul_f32_e32 v99, v75, v99                                // 0000000060D4: 0AC6C74B
	v_mfma_f32_16x16x16_bf16 v[188:191], v[136:137], v[170:171], v[188:191]// 0000000060D8: D3E100BC 06F35588
	v_perm_b32 v82, v89, v88, s64                              // 0000000060E0: D1ED0052 0102B159
	v_perm_b32 v83, v91, v90, s64                              // 0000000060E8: D1ED0053 0102B55B
	v_perm_b32 v84, v93, v92, s64                              // 0000000060F0: D1ED0054 0102B95D
	v_perm_b32 v85, v95, v94, s64                              // 0000000060F8: D1ED0055 0102BD5F
	v_perm_b32 v86, v97, v96, s64                              // 000000006100: D1ED0056 0102C161
	v_perm_b32 v87, v99, v98, s64                              // 000000006108: D1ED0057 0102C563
	v_mfma_f32_16x16x16_bf16 v[192:195], v[138:139], v[170:171], v[192:195]// 000000006110: D3E100C0 0703558A
	v_mov_b32_dpp v22, v82 quad_perm:[1,0,3,2] row_mask:0xf bank_mask:0xf// 000000006118: 7E2C02FA FF00B152
	v_perm_b32 v58, v22, v82, v21                              // 000000006120: D1ED003A 0456A516
	v_mov_b32_dpp v22, v83 quad_perm:[1,0,3,2] row_mask:0xf bank_mask:0xf// 000000006128: 7E2C02FA FF00B153
	v_perm_b32 v59, v22, v83, v21                              // 000000006130: D1ED003B 0456A716
	v_mov_b32_dpp v22, v84 quad_perm:[1,0,3,2] row_mask:0xf bank_mask:0xf// 000000006138: 7E2C02FA FF00B154
	v_perm_b32 v60, v22, v84, v21                              // 000000006140: D1ED003C 0456A916
	v_mfma_f32_16x16x16_bf16 v[196:199], v[132:133], v[172:173], v[196:199]// 000000006148: D3E100C4 07135984
	v_mov_b32_dpp v22, v85 quad_perm:[1,0,3,2] row_mask:0xf bank_mask:0xf// 000000006150: 7E2C02FA FF00B155
	v_perm_b32 v61, v22, v85, v21                              // 000000006158: D1ED003D 0456AB16
	v_mov_b32_dpp v22, v86 quad_perm:[1,0,3,2] row_mask:0xf bank_mask:0xf// 000000006160: 7E2C02FA FF00B156
	v_perm_b32 v62, v22, v86, v21                              // 000000006168: D1ED003E 0456AD16
	v_mov_b32_dpp v22, v87 quad_perm:[1,0,3,2] row_mask:0xf bank_mask:0xf// 000000006170: 7E2C02FA FF00B157
	v_perm_b32 v63, v22, v87, v21                              // 000000006178: D1ED003F 0456AF16
	v_mfma_f32_16x16x16_bf16 v[200:203], v[134:135], v[172:173], v[200:203]// 000000006180: D3E100C8 07235986
	ds_write_b32 v24, v58 offset:24320                         // 000000006188: D81A5F00 00003A18
	ds_write_b32 v24, v59 offset:24864                         // 000000006190: D81A6120 00003B18
	v_mfma_f32_16x16x16_bf16 v[204:207], v[136:137], v[172:173], v[204:207]// 000000006198: D3E100CC 07335988
	v_mfma_f32_16x16x16_bf16 v[208:211], v[138:139], v[172:173], v[208:211]// 0000000061A0: D3E100D0 0743598A
	ds_write_b32 v24, v60 offset:26624                         // 0000000061A8: D81A6800 00003C18
	ds_write_b32 v24, v61 offset:27168                         // 0000000061B0: D81A6A20 00003D18
	ds_write_b32 v24, v62 offset:28928                         // 0000000061B8: D81A7100 00003E18
	ds_write_b32 v24, v63 offset:29472                         // 0000000061C0: D81A7320 00003F18
	v_mfma_f32_16x16x16_bf16 v[212:215], v[132:133], v[174:175], v[212:215]// 0000000061C8: D3E100D4 07535D84
	v_mfma_f32_16x16x16_bf16 v[216:219], v[134:135], v[174:175], v[216:219]// 0000000061D0: D3E100D8 07635D86
	ds_write_b32 v19, v100 offset:4352                         // 0000000061D8: D81A1100 00006413
	ds_write_b32 v19, v101 offset:5408                         // 0000000061E0: D81A1520 00006513
	v_mfma_f32_16x16x16_bf16 v[220:223], v[136:137], v[174:175], v[220:223]// 0000000061E8: D3E100DC 07735D88
	s_nop 0                                                    // 0000000061F0: BF800000
	s_nop 0                                                    // 0000000061F4: BF800000
	s_nop 0                                                    // 0000000061F8: BF800000
	v_mfma_f32_16x16x16_bf16 v[224:227], v[138:139], v[174:175], v[224:227]// 0000000061FC: D3E100E0 07835D8A
	ds_write_b32 v19, v102 offset:6528                         // 000000006204: D81A1980 00006613
	ds_write_b32 v19, v103 offset:7584                         // 00000000620C: D81A1DA0 00006713
	s_barrier                                                  // 000000006214: BF8A0000
	v_mfma_f32_16x16x16_bf16 a[112:115], a[96:97], v[76:77], a[112:115]// 000000006218: D3E18070 0DC29960
	global_atomic_pk_add_bf16 v6, v156, s[32:33]               // 000000006220: DD488000 00209C06
	v_mfma_f32_16x16x16_bf16 a[116:119], a[98:99], v[76:77], a[116:119]// 000000006228: D3E18074 0DD29962
	ds_read_b32 v140, v27 offset:36096                         // 000000006230: D86C8D00 8C00001B
	ds_read_b32 v144, v27 offset:36160                         // 000000006238: D86C8D40 9000001B
	ds_read_b32 v176, v27 offset:36352                         // 000000006240: D86C8E00 B000001B
	ds_read_b32 v177, v27 offset:36416                         // 000000006248: D86C8E40 B100001B
	v_mfma_f32_16x16x16_bf16 a[120:123], a[100:101], v[76:77], a[120:123]// 000000006250: D3E18078 0DE29964
	s_waitcnt lgkmcnt(8)                                       // 000000006258: BF8CC87F
	s_barrier                                                  // 00000000625C: BF8A0000
	v_mfma_f32_16x16x16_bf16 a[124:127], a[102:103], v[76:77], a[124:127]// 000000006260: D3E1807C 0DF29966
	ds_read_b128 v[52:55], v23 offset:17408                    // 000000006268: D9FE4400 34000017
	v_mfma_f32_16x16x16_bf16 a[128:131], a[96:97], v[78:79], a[128:131]// 000000006270: D3E18080 0E029D60
	v_mfma_f32_16x16x16_bf16 a[132:135], a[98:99], v[78:79], a[132:135]// 000000006278: D3E18084 0E129D62
	ds_read_b128 v[56:59], v23 offset:18560                    // 000000006280: D9FE4880 38000017
	v_mfma_f32_16x16x16_bf16 a[136:139], a[100:101], v[78:79], a[136:139]// 000000006288: D3E18088 0E229D64
	global_atomic_pk_add_bf16 v8, v157, s[32:33]               // 000000006290: DD488000 00209D08
	v_mfma_f32_16x16x16_bf16 a[140:143], a[102:103], v[78:79], a[140:143]// 000000006298: D3E1808C 0E329D66
	ds_read_b128 v[60:63], v23 offset:19712                    // 0000000062A0: D9FE4D00 3C000017
	v_mfma_f32_16x16x16_bf16 a[144:147], a[96:97], v[80:81], a[144:147]// 0000000062A8: D3E18090 0E42A160
	v_mfma_f32_16x16x16_bf16 a[148:151], a[98:99], v[80:81], a[148:151]// 0000000062B0: D3E18094 0E52A162
	ds_read_b128 v[64:67], v23 offset:20864                    // 0000000062B8: D9FE5180 40000017
	v_mfma_f32_16x16x16_bf16 a[152:155], a[100:101], v[80:81], a[152:155]// 0000000062C0: D3E18098 0E62A164
	v_mfma_f32_16x16x16_bf16 a[156:159], a[102:103], v[80:81], a[156:159]// 0000000062C8: D3E1809C 0E72A166
	ds_read_b128 v[68:71], v23 offset:22016                    // 0000000062D0: D9FE5600 44000017
	v_mfma_f32_16x16x16_bf16 a[112:115], a[104:105], v[82:83], a[112:115]// 0000000062D8: D3E18070 0DC2A568
	global_atomic_pk_add_bf16 v10, v158, s[32:33]              // 0000000062E0: DD488000 00209E0A
	v_mfma_f32_16x16x16_bf16 a[116:119], a[106:107], v[82:83], a[116:119]// 0000000062E8: D3E18074 0DD2A56A
	ds_read_b128 v[72:75], v23 offset:23168                    // 0000000062F0: D9FE5A80 48000017
	v_mfma_f32_16x16x16_bf16 a[120:123], a[108:109], v[82:83], a[120:123]// 0000000062F8: D3E18078 0DE2A56C
	v_mfma_f32_16x16x16_bf16 a[124:127], a[110:111], v[82:83], a[124:127]// 000000006300: D3E1807C 0DF2A56E
	ds_write_b32 v19, v104 offset:13056                        // 000000006308: D81A3300 00006813
	v_mfma_f32_16x16x16_bf16 a[128:131], a[104:105], v[84:85], a[128:131]// 000000006310: D3E18080 0E02A968
	v_mfma_f32_16x16x16_bf16 a[132:135], a[106:107], v[84:85], a[132:135]// 000000006318: D3E18084 0E12A96A
	ds_write_b32 v19, v105 offset:14112                        // 000000006320: D81A3720 00006913
	v_mfma_f32_16x16x16_bf16 a[136:139], a[108:109], v[84:85], a[136:139]// 000000006328: D3E18088 0E22A96C
	global_atomic_pk_add_bf16 v12, v159, s[32:33]              // 000000006330: DD488000 00209F0C
	v_mfma_f32_16x16x16_bf16 a[140:143], a[110:111], v[84:85], a[140:143]// 000000006338: D3E1808C 0E32A96E
	ds_write_b32 v19, v106 offset:15232                        // 000000006340: D81A3B80 00006A13
	v_mfma_f32_16x16x16_bf16 a[144:147], a[104:105], v[86:87], a[144:147]// 000000006348: D3E18090 0E42AD68
	v_mfma_f32_16x16x16_bf16 a[148:151], a[106:107], v[86:87], a[148:151]// 000000006350: D3E18094 0E52AD6A
	ds_write_b32 v19, v107 offset:16288                        // 000000006358: D81A3FA0 00006B13
	v_mfma_f32_16x16x16_bf16 a[152:155], a[108:109], v[86:87], a[152:155]// 000000006360: D3E18098 0E62AD6C
	v_mfma_f32_16x16x16_bf16 a[156:159], a[110:111], v[86:87], a[156:159]// 000000006368: D3E1809C 0E72AD6E
	s_waitcnt vmcnt(4) lgkmcnt(4)                              // 000000006370: BF8C0474
	s_barrier                                                  // 000000006374: BF8A0000
	v_mfma_f32_16x16x16_bf16 v[148:151], a[24:25], v[52:53], 0 // 000000006378: D3E10094 0A026918
	v_mul_f32_e32 v140, s49, v140                              // 000000006380: 0B191831
	v_mul_f32_e32 v144, s49, v144                              // 000000006384: 0B212031
	s_nop 0                                                    // 000000006388: BF800000
	v_mfma_f32_16x16x16_bf16 v[148:151], a[28:29], v[54:55], v[148:151]// 00000000638C: D3E10094 0E526D1C
	ds_read_b128 a[96:99], v16                                 // 000000006394: DBFE0000 60000010
	buffer_load_dword v40, v1, s[8:11], 0 idxen                // 00000000639C: E0502000 80022801
	v_mfma_f32_16x16x16_bf16 v[148:151], a[32:33], v[56:57], v[148:151]// 0000000063A4: D3E10094 0E527120
	v_mfma_f32_16x16x16_bf16 v[148:151], a[36:37], v[58:59], v[148:151]// 0000000063AC: D3E10094 0E527524
	ds_read_b128 a[100:103], v16 offset:512                    // 0000000063B4: DBFE0200 64000010
	buffer_load_dword v41, v2, s[8:11], 0 idxen                // 0000000063BC: E0502000 80022902
	v_mfma_f32_16x16x16_bf16 v[148:151], a[40:41], v[60:61], v[148:151]// 0000000063C4: D3E10094 0E527928
	v_perm_b32 v100, v37, v36, s63                             // 0000000063CC: D1ED0064 00FE4925
	v_perm_b32 v101, v37, v36, s64                             // 0000000063D4: D1ED0065 01024925
	v_mfma_f32_16x16x16_bf16 v[148:151], a[44:45], v[62:63], v[148:151]// 0000000063DC: D3E10094 0E527D2C
	ds_read_b128 a[104:107], v16 offset:2176                   // 0000000063E4: DBFE0880 68000010
	buffer_load_dword v42, v3, s[8:11], 0 idxen                // 0000000063EC: E0502000 80022A03
	v_mfma_f32_16x16x16_bf16 v[148:151], a[48:49], v[64:65], v[148:151]// 0000000063F4: D3E10094 0E528130
	v_perm_b32 v102, v39, v38, s63                             // 0000000063FC: D1ED0066 00FE4D27
	v_perm_b32 v103, v39, v38, s64                             // 000000006404: D1ED0067 01024D27
	v_mfma_f32_16x16x16_bf16 v[148:151], a[52:53], v[66:67], v[148:151]// 00000000640C: D3E10094 0E528534
	ds_read_b128 a[108:111], v16 offset:2688                   // 000000006414: DBFE0A80 6C000010
	buffer_load_dword v43, v4, s[8:11], 0 idxen                // 00000000641C: E0502000 80022B04
	v_mfma_f32_16x16x16_bf16 v[148:151], a[56:57], v[68:69], v[148:151]// 000000006424: D3E10094 0E528938
	v_perm_b32 v104, v45, v44, s63                             // 00000000642C: D1ED0068 00FE592D
	v_perm_b32 v105, v45, v44, s64                             // 000000006434: D1ED0069 0102592D
	v_mfma_f32_16x16x16_bf16 v[148:151], a[60:61], v[70:71], v[148:151]// 00000000643C: D3E10094 0E528D3C
	ds_read_b128 v[108:111], v16 offset:8704                   // 000000006444: D9FE2200 6C000010
	buffer_load_dword v48, v1, s[20:23], 0 idxen               // 00000000644C: E0502000 80053001
	v_mfma_f32_16x16x16_bf16 v[148:151], a[64:65], v[72:73], v[148:151]// 000000006454: D3E10094 0E529140
	v_perm_b32 v106, v47, v46, s63                             // 00000000645C: D1ED006A 00FE5D2F
	v_perm_b32 v107, v47, v46, s64                             // 000000006464: D1ED006B 01025D2F
	v_mfma_f32_16x16x16_bf16 v[148:151], a[68:69], v[74:75], v[148:151]// 00000000646C: D3E10094 0E529544
	ds_read_b128 v[112:115], v16 offset:9216                   // 000000006474: D9FE2400 70000010
	buffer_load_dword v49, v2, s[20:23], 0 idxen               // 00000000647C: E0502000 80053102
	v_mfma_f32_16x16x16_bf16 v[152:155], a[26:27], v[52:53], 0 // 000000006484: D3E10098 0A02691A
	v_mov_b32_dpp v143, v140 quad_perm:[3,3,3,3] row_mask:0xf bank_mask:0xf// 00000000648C: 7F1E02FA FF00FF8C
	v_mov_b32_dpp v142, v140 quad_perm:[2,2,2,2] row_mask:0xf bank_mask:0xf// 000000006494: 7F1C02FA FF00AA8C
	v_mov_b32_dpp v141, v140 quad_perm:[1,1,1,1] row_mask:0xf bank_mask:0xf// 00000000649C: 7F1A02FA FF00558C
	v_mov_b32_dpp v140, v140 quad_perm:[0,0,0,0] row_mask:0xf bank_mask:0xf// 0000000064A4: 7F1802FA FF00008C
	v_mfma_f32_16x16x16_bf16 v[152:155], a[30:31], v[54:55], v[152:155]// 0000000064AC: D3E10098 0E626D1E
	ds_read_b128 v[116:119], v16 offset:10880                  // 0000000064B4: D9FE2A80 74000010
	buffer_load_dword v50, v3, s[20:23], 0 idxen               // 0000000064BC: E0502000 80053203
	v_mfma_f32_16x16x16_bf16 v[152:155], a[34:35], v[56:57], v[152:155]// 0000000064C4: D3E10098 0E627122
	v_mov_b32_dpp v147, v144 quad_perm:[3,3,3,3] row_mask:0xf bank_mask:0xf// 0000000064CC: 7F2602FA FF00FF90
	v_mov_b32_dpp v146, v144 quad_perm:[2,2,2,2] row_mask:0xf bank_mask:0xf// 0000000064D4: 7F2402FA FF00AA90
	v_mov_b32_dpp v145, v144 quad_perm:[1,1,1,1] row_mask:0xf bank_mask:0xf// 0000000064DC: 7F2202FA FF005590
	v_mov_b32_dpp v144, v144 quad_perm:[0,0,0,0] row_mask:0xf bank_mask:0xf// 0000000064E4: 7F2002FA FF000090
	s_add_u32 s60, 0x80, s59                                   // 0000000064EC: 803C3BFF 00000080
	v_mfma_f32_16x16x16_bf16 v[152:155], a[38:39], v[58:59], v[152:155]// 0000000064F4: D3E10098 0E627526
	ds_read_b128 v[120:123], v16 offset:11392                  // 0000000064FC: D9FE2C80 78000010
	buffer_load_dword v51, v4, s[20:23], 0 idxen               // 000000006504: E0502000 80053304
	v_mfma_f32_16x16x16_bf16 v[152:155], a[42:43], v[60:61], v[152:155]// 00000000650C: D3E10098 0E62792A
	s_cmp_lt_u32 s60, s58                                      // 000000006514: BF0A3A3C
	s_cselect_b32 s68, s68, 0                                  // 000000006518: 85448044
	s_cselect_b32 s69, s69, 0                                  // 00000000651C: 85458045
	v_mfma_f32_16x16x16_bf16 v[152:155], a[46:47], v[62:63], v[152:155]// 000000006520: D3E10098 0E627D2E
	buffer_load_dword v15, s[24:27], 0 idxen lds               // 000000006528: E0512000 8006000F
	v_mfma_f32_16x16x16_bf16 v[152:155], a[50:51], v[64:65], v[152:155]// 000000006530: D3E10098 0E628132
	s_add_u32 s8, s68, s8                                      // 000000006538: 80080844
	s_addc_u32 s9, 0, s9                                       // 00000000653C: 82090980
	v_mfma_f32_16x16x16_bf16 v[152:155], a[54:55], v[66:67], v[152:155]// 000000006540: D3E10098 0E628536
	s_add_u32 s20, s68, s20                                    // 000000006548: 80141444
	s_addc_u32 s21, 0, s21                                     // 00000000654C: 82151580
	v_mfma_f32_16x16x16_bf16 v[152:155], a[58:59], v[68:69], v[152:155]// 000000006550: D3E10098 0E62893A
	s_mov_b32 m0, s80                                          // 000000006558: BEFC0050
	v_add_u32_e32 v15, s69, v15                                // 00000000655C: 681E1E45
	v_mfma_f32_16x16x16_bf16 v[152:155], a[62:63], v[70:71], v[152:155]// 000000006560: D3E10098 0E628D3E
	s_cmp_ge_u32 s59, s73                                      // 000000006568: BF09493B
	s_cselect_b32 s66, s67, s66                                // 00000000656C: 85424243
	v_mfma_f32_16x16x16_bf16 v[152:155], a[66:67], v[72:73], v[152:155]// 000000006570: D3E10098 0E629142
	s_addk_i32 s59, 0x20                                       // 000000006578: B73B0020
	s_nop 0                                                    // 00000000657C: BF800000
	s_cmp_lt_i32 s59, s58                                      // 000000006580: BF043A3B
	v_mfma_f32_16x16x16_bf16 v[152:155], a[70:71], v[74:75], v[152:155]// 000000006584: D3E10098 0E629546
	s_cbranch_scc0 label_0D14                                  // 00000000658C: BF8403B0
	s_waitcnt lgkmcnt(4)                                       // 000000006590: BF8CC47F
	s_barrier                                                  // 000000006594: BF8A0000
	v_mfma_f32_16x16x16_bf16 v[52:55], a[96:97], a[0:1], 0     // 000000006598: D3E10034 1A020160
	ds_write_b32 v17, v44 offset:8704                          // 0000000065A0: D81A2200 00002C11
	ds_write_b32 v17, v45 offset:9760                          // 0000000065A8: D81A2620 00002D11
	v_mfma_f32_16x16x16_bf16 v[52:55], a[98:99], a[2:3], v[52:55]// 0000000065B0: D3E10034 1CD20562
	v_mul_f32_e32 v148, s48, v148                              // 0000000065B8: 0B292830
	v_mul_f32_e32 v149, s48, v149                              // 0000000065BC: 0B2B2A30
	v_mfma_f32_16x16x16_bf16 v[52:55], a[100:101], a[4:5], v[52:55]// 0000000065C0: D3E10034 1CD20964
	ds_write_b32 v17, v46 offset:10880                         // 0000000065C8: D81A2A80 00002E11
	ds_write_b32 v17, v47 offset:11936                         // 0000000065D0: D81A2EA0 00002F11
	v_mfma_f32_16x16x16_bf16 v[52:55], a[102:103], a[6:7], v[52:55]// 0000000065D8: D3E10034 1CD20D66
	v_mul_f32_e32 v150, s48, v150                              // 0000000065E0: 0B2D2C30
	v_mul_f32_e32 v151, s48, v151                              // 0000000065E4: 0B2F2E30
	v_mfma_f32_16x16x16_bf16 v[56:59], a[96:97], a[8:9], 0     // 0000000065E8: D3E10038 1A021160
	v_mul_f32_e32 v152, s48, v152                              // 0000000065F0: 0B313030
	v_mul_f32_e32 v153, s48, v153                              // 0000000065F4: 0B333230
	v_mfma_f32_16x16x16_bf16 v[56:59], a[98:99], a[10:11], v[56:59]// 0000000065F8: D3E10038 1CE21562
	v_mul_f32_e32 v154, s48, v154                              // 000000006600: 0B353430
	v_mul_f32_e32 v155, s48, v155                              // 000000006604: 0B373630
	v_mfma_f32_16x16x16_bf16 v[56:59], a[100:101], a[12:13], v[56:59]// 000000006608: D3E10038 1CE21964
	v_perm_b32 v148, v149, v148, s64                           // 000000006610: D1ED0094 01032995
	v_perm_b32 v149, v151, v150, s64                           // 000000006618: D1ED0095 01032D97
	v_mfma_f32_16x16x16_bf16 v[56:59], a[102:103], a[14:15], v[56:59]// 000000006620: D3E10038 1CE21D66
	v_perm_b32 v150, v153, v152, s64                           // 000000006628: D1ED0096 01033199
	v_perm_b32 v151, v155, v154, s64                           // 000000006630: D1ED0097 0103359B
	v_mfma_f32_16x16x16_bf16 v[60:63], a[96:97], a[16:17], 0   // 000000006638: D3E1003C 1A022160
	ds_write_b64 v26, v[148:149] offset:31232                  // 000000006640: D89A7A00 0000941A
	v_mfma_f32_16x16x16_bf16 v[60:63], a[98:99], a[18:19], v[60:63]// 000000006648: D3E1003C 1CF22562
	v_mfma_f32_16x16x16_bf16 v[60:63], a[100:101], a[20:21], v[60:63]// 000000006650: D3E1003C 1CF22964
	ds_write_b64 v26, v[150:151] offset:31776                  // 000000006658: D89A7C20 0000961A
	v_mfma_f32_16x16x16_bf16 v[60:63], a[102:103], a[22:23], v[60:63]// 000000006660: D3E1003C 1CF22D66
	v_mfma_f32_16x16x16_bf16 v[64:67], a[104:105], a[0:1], 0   // 000000006668: D3E10040 1A020168
	ds_read_b128 v[124:127], v18 offset:13056                  // 000000006670: D9FE3300 7C000012
	ds_write_b32 v17, v36                                      // 000000006678: D81A0000 00002411
	v_mfma_f32_16x16x16_bf16 v[64:67], a[106:107], a[2:3], v[64:67]// 000000006680: D3E10040 1D02056A
	v_mfma_f32_16x16x16_bf16 v[64:67], a[108:109], a[4:5], v[64:67]// 000000006688: D3E10040 1D02096C
	v_mfma_f32_16x16x16_bf16 v[64:67], a[110:111], a[6:7], v[64:67]// 000000006690: D3E10040 1D020D6E
	ds_read_b128 v[128:131], v18 offset:13568                  // 000000006698: D9FE3500 80000012
	ds_write_b32 v17, v37 offset:1056                          // 0000000066A0: D81A0420 00002511
	v_mfma_f32_16x16x16_bf16 v[68:71], a[104:105], a[8:9], 0   // 0000000066A8: D3E10044 1A021168
	v_mfma_f32_16x16x16_bf16 v[68:71], a[106:107], a[10:11], v[68:71]// 0000000066B0: D3E10044 1D12156A
	v_mfma_f32_16x16x16_bf16 v[68:71], a[108:109], a[12:13], v[68:71]// 0000000066B8: D3E10044 1D12196C
	ds_read_b128 v[132:135], v18 offset:15232                  // 0000000066C0: D9FE3B80 84000012
	ds_write_b32 v17, v38 offset:2176                          // 0000000066C8: D81A0880 00002611
	v_mfma_f32_16x16x16_bf16 v[68:71], a[110:111], a[14:15], v[68:71]// 0000000066D0: D3E10044 1D121D6E
	v_mfma_f32_16x16x16_bf16 v[72:75], a[104:105], a[16:17], 0 // 0000000066D8: D3E10048 1A022168
	v_mfma_f32_16x16x16_bf16 v[72:75], a[106:107], a[18:19], v[72:75]// 0000000066E0: D3E10048 1D22256A
	ds_read_b128 v[136:139], v18 offset:15744                  // 0000000066E8: D9FE3D80 88000012
	ds_write_b32 v17, v39 offset:3232                          // 0000000066F0: D81A0CA0 00002711
	v_mfma_f32_16x16x16_bf16 v[72:75], a[108:109], a[20:21], v[72:75]// 0000000066F8: D3E10048 1D22296C
	v_mfma_f32_16x16x16_bf16 v[72:75], a[110:111], a[22:23], v[72:75]// 000000006700: D3E10048 1D222D6E
	s_cmp_lt_i32 s74, 12                                       // 000000006708: BF048C4A
	s_cbranch_scc0 label_0AAA                                  // 00000000670C: BF8400E6
	s_mov_b32 s60, 0xffe0fffe                                  // 000000006710: BEBC00FF FFE0FFFE
	s_mov_b32 s61, 0xe000fe00                                  // 000000006718: BEBD00FF E000FE00
	s_nop 0                                                    // 000000006720: BF800000
	s_add_u32 s62, 0, s47                                      // 000000006724: 803E2F80
	s_cmp_lt_i32 s74, s62                                      // 000000006728: BF043E4A
	s_cbranch_scc1 label_09F4                                  // 00000000672C: BF850028
	s_cmp_eq_i32 s74, s62                                      // 000000006730: BF003E4A
	s_cbranch_scc1 label_09D9                                  // 000000006734: BF85000B
	s_add_u32 s62, 4, s47                                      // 000000006738: 803E2F84
	s_cmp_lt_i32 s74, s62                                      // 00000000673C: BF043E4A
	s_cbranch_scc1 label_0A14                                  // 000000006740: BF850043
	s_cmp_eq_i32 s74, s62                                      // 000000006744: BF003E4A
	s_cbranch_scc1 label_09F9                                  // 000000006748: BF850026
	s_add_u32 s62, 8, s47                                      // 00000000674C: 803E2F88
	s_cmp_lt_i32 s74, s62                                      // 000000006750: BF043E4A
	s_cbranch_scc1 label_0A34                                  // 000000006754: BF85005E
	s_cmp_eq_i32 s74, s62                                      // 000000006758: BF003E4A
	s_cbranch_scc1 label_0A19                                  // 00000000675C: BF850041
	s_branch label_0A39                                        // 000000006760: BF820060

0000000000006764 <label_09D9>:
	v_cndmask_b32_e64 v52, v52, v178, s[60:61]                 // 000000006764: D1000034 00F36534
	s_lshl_b32 s60, s60, 1                                     // 00000000676C: 8E3C813C
	s_lshl_b32 s61, s61, 1                                     // 000000006770: 8E3D813D
	s_and_b32 s60, 0xfffeffff, s60                             // 000000006774: 863C3CFF FFFEFFFF
	s_and_b32 s61, 0xfffeffff, s61                             // 00000000677C: 863D3DFF FFFEFFFF
	v_cndmask_b32_e64 v53, v53, v178, s[60:61]                 // 000000006784: D1000035 00F36535
	s_lshl_b32 s60, s60, 1                                     // 00000000678C: 8E3C813C
	s_lshl_b32 s61, s61, 1                                     // 000000006790: 8E3D813D
	s_and_b32 s60, 0xfffeffff, s60                             // 000000006794: 863C3CFF FFFEFFFF
	s_and_b32 s61, 0xfffeffff, s61                             // 00000000679C: 863D3DFF FFFEFFFF
	v_cndmask_b32_e64 v54, v54, v178, s[60:61]                 // 0000000067A4: D1000036 00F36536
	s_lshl_b32 s60, s60, 1                                     // 0000000067AC: 8E3C813C
	s_lshl_b32 s61, s61, 1                                     // 0000000067B0: 8E3D813D
	s_and_b32 s60, 0xfffeffff, s60                             // 0000000067B4: 863C3CFF FFFEFFFF
	s_and_b32 s61, 0xfffeffff, s61                             // 0000000067BC: 863D3DFF FFFEFFFF
	v_cndmask_b32_e64 v55, v55, v178, s[60:61]                 // 0000000067C4: D1000037 00F36537
	s_branch label_0A14                                        // 0000000067CC: BF820020

00000000000067d0 <label_09F4>:
	v_mov_b32_e32 v52, v178                                    // 0000000067D0: 7E6803B2
	v_mov_b32_e32 v53, v178                                    // 0000000067D4: 7E6A03B2
	v_mov_b32_e32 v54, v178                                    // 0000000067D8: 7E6C03B2
	v_mov_b32_e32 v55, v178                                    // 0000000067DC: 7E6E03B2
	s_branch label_0A14                                        // 0000000067E0: BF82001B

00000000000067e4 <label_09F9>:
	v_cndmask_b32_e64 v56, v56, v178, s[60:61]                 // 0000000067E4: D1000038 00F36538
	s_lshl_b32 s60, s60, 1                                     // 0000000067EC: 8E3C813C
	s_lshl_b32 s61, s61, 1                                     // 0000000067F0: 8E3D813D
	s_and_b32 s60, 0xfffeffff, s60                             // 0000000067F4: 863C3CFF FFFEFFFF
	s_and_b32 s61, 0xfffeffff, s61                             // 0000000067FC: 863D3DFF FFFEFFFF
	v_cndmask_b32_e64 v57, v57, v178, s[60:61]                 // 000000006804: D1000039 00F36539
	s_lshl_b32 s60, s60, 1                                     // 00000000680C: 8E3C813C
	s_lshl_b32 s61, s61, 1                                     // 000000006810: 8E3D813D
	s_and_b32 s60, 0xfffeffff, s60                             // 000000006814: 863C3CFF FFFEFFFF
	s_and_b32 s61, 0xfffeffff, s61                             // 00000000681C: 863D3DFF FFFEFFFF
	v_cndmask_b32_e64 v58, v58, v178, s[60:61]                 // 000000006824: D100003A 00F3653A
	s_lshl_b32 s60, s60, 1                                     // 00000000682C: 8E3C813C
	s_lshl_b32 s61, s61, 1                                     // 000000006830: 8E3D813D
	s_and_b32 s60, 0xfffeffff, s60                             // 000000006834: 863C3CFF FFFEFFFF
	s_and_b32 s61, 0xfffeffff, s61                             // 00000000683C: 863D3DFF FFFEFFFF
	v_cndmask_b32_e64 v59, v59, v178, s[60:61]                 // 000000006844: D100003B 00F3653B
	s_branch label_0A34                                        // 00000000684C: BF820020

0000000000006850 <label_0A14>:
	v_mov_b32_e32 v56, v178                                    // 000000006850: 7E7003B2
	v_mov_b32_e32 v57, v178                                    // 000000006854: 7E7203B2
	v_mov_b32_e32 v58, v178                                    // 000000006858: 7E7403B2
	v_mov_b32_e32 v59, v178                                    // 00000000685C: 7E7603B2
	s_branch label_0A34                                        // 000000006860: BF82001B

0000000000006864 <label_0A19>:
	v_cndmask_b32_e64 v60, v60, v178, s[60:61]                 // 000000006864: D100003C 00F3653C
	s_lshl_b32 s60, s60, 1                                     // 00000000686C: 8E3C813C
	s_lshl_b32 s61, s61, 1                                     // 000000006870: 8E3D813D
	s_and_b32 s60, 0xfffeffff, s60                             // 000000006874: 863C3CFF FFFEFFFF
	s_and_b32 s61, 0xfffeffff, s61                             // 00000000687C: 863D3DFF FFFEFFFF
	v_cndmask_b32_e64 v61, v61, v178, s[60:61]                 // 000000006884: D100003D 00F3653D
	s_lshl_b32 s60, s60, 1                                     // 00000000688C: 8E3C813C
	s_lshl_b32 s61, s61, 1                                     // 000000006890: 8E3D813D
	s_and_b32 s60, 0xfffeffff, s60                             // 000000006894: 863C3CFF FFFEFFFF
	s_and_b32 s61, 0xfffeffff, s61                             // 00000000689C: 863D3DFF FFFEFFFF
	v_cndmask_b32_e64 v62, v62, v178, s[60:61]                 // 0000000068A4: D100003E 00F3653E
	s_lshl_b32 s60, s60, 1                                     // 0000000068AC: 8E3C813C
	s_lshl_b32 s61, s61, 1                                     // 0000000068B0: 8E3D813D
	s_and_b32 s60, 0xfffeffff, s60                             // 0000000068B4: 863C3CFF FFFEFFFF
	s_and_b32 s61, 0xfffeffff, s61                             // 0000000068BC: 863D3DFF FFFEFFFF
	v_cndmask_b32_e64 v63, v63, v178, s[60:61]                 // 0000000068C4: D100003F 00F3653F
	s_branch label_0A39                                        // 0000000068CC: BF820005

00000000000068d0 <label_0A34>:
	v_mov_b32_e32 v60, v178                                    // 0000000068D0: 7E7803B2
	v_mov_b32_e32 v61, v178                                    // 0000000068D4: 7E7A03B2
	v_mov_b32_e32 v62, v178                                    // 0000000068D8: 7E7C03B2
	v_mov_b32_e32 v63, v178                                    // 0000000068DC: 7E7E03B2
	s_branch label_0A39                                        // 0000000068E0: BF820000

00000000000068e4 <label_0A39>:
	s_addk_i32 s74, 0x1                                        // 0000000068E4: B74A0001
	s_add_u32 s62, 0, s47                                      // 0000000068E8: 803E2F80
	s_cmp_lt_i32 s74, s62                                      // 0000000068EC: BF043E4A
	s_cbranch_scc1 label_0A65                                  // 0000000068F0: BF850028
	s_cmp_eq_i32 s74, s62                                      // 0000000068F4: BF003E4A
	s_cbranch_scc1 label_0A4A                                  // 0000000068F8: BF85000B
	s_add_u32 s62, 4, s47                                      // 0000000068FC: 803E2F84
	s_cmp_lt_i32 s74, s62                                      // 000000006900: BF043E4A
	s_cbranch_scc1 label_0A85                                  // 000000006904: BF850043
	s_cmp_eq_i32 s74, s62                                      // 000000006908: BF003E4A
	s_cbranch_scc1 label_0A6A                                  // 00000000690C: BF850026
	s_add_u32 s62, 8, s47                                      // 000000006910: 803E2F88
	s_cmp_lt_i32 s74, s62                                      // 000000006914: BF043E4A
	s_cbranch_scc1 label_0AA5                                  // 000000006918: BF85005E
	s_cmp_eq_i32 s74, s62                                      // 00000000691C: BF003E4A
	s_cbranch_scc1 label_0A8A                                  // 000000006920: BF850041
	s_branch label_0AAA                                        // 000000006924: BF820060

0000000000006928 <label_0A4A>:
	v_cndmask_b32_e64 v64, v64, v178, s[60:61]                 // 000000006928: D1000040 00F36540
	s_lshl_b32 s60, s60, 1                                     // 000000006930: 8E3C813C
	s_lshl_b32 s61, s61, 1                                     // 000000006934: 8E3D813D
	s_and_b32 s60, 0xfffeffff, s60                             // 000000006938: 863C3CFF FFFEFFFF
	s_and_b32 s61, 0xfffeffff, s61                             // 000000006940: 863D3DFF FFFEFFFF
	v_cndmask_b32_e64 v65, v65, v178, s[60:61]                 // 000000006948: D1000041 00F36541
	s_lshl_b32 s60, s60, 1                                     // 000000006950: 8E3C813C
	s_lshl_b32 s61, s61, 1                                     // 000000006954: 8E3D813D
	s_and_b32 s60, 0xfffeffff, s60                             // 000000006958: 863C3CFF FFFEFFFF
	s_and_b32 s61, 0xfffeffff, s61                             // 000000006960: 863D3DFF FFFEFFFF
	v_cndmask_b32_e64 v66, v66, v178, s[60:61]                 // 000000006968: D1000042 00F36542
	s_lshl_b32 s60, s60, 1                                     // 000000006970: 8E3C813C
	s_lshl_b32 s61, s61, 1                                     // 000000006974: 8E3D813D
	s_and_b32 s60, 0xfffeffff, s60                             // 000000006978: 863C3CFF FFFEFFFF
	s_and_b32 s61, 0xfffeffff, s61                             // 000000006980: 863D3DFF FFFEFFFF
	v_cndmask_b32_e64 v67, v67, v178, s[60:61]                 // 000000006988: D1000043 00F36543
	s_branch label_0A85                                        // 000000006990: BF820020

0000000000006994 <label_0A65>:
	v_mov_b32_e32 v64, v178                                    // 000000006994: 7E8003B2
	v_mov_b32_e32 v65, v178                                    // 000000006998: 7E8203B2
	v_mov_b32_e32 v66, v178                                    // 00000000699C: 7E8403B2
	v_mov_b32_e32 v67, v178                                    // 0000000069A0: 7E8603B2
	s_branch label_0A85                                        // 0000000069A4: BF82001B

00000000000069a8 <label_0A6A>:
	v_cndmask_b32_e64 v68, v68, v178, s[60:61]                 // 0000000069A8: D1000044 00F36544
	s_lshl_b32 s60, s60, 1                                     // 0000000069B0: 8E3C813C
	s_lshl_b32 s61, s61, 1                                     // 0000000069B4: 8E3D813D
	s_and_b32 s60, 0xfffeffff, s60                             // 0000000069B8: 863C3CFF FFFEFFFF
	s_and_b32 s61, 0xfffeffff, s61                             // 0000000069C0: 863D3DFF FFFEFFFF
	v_cndmask_b32_e64 v69, v69, v178, s[60:61]                 // 0000000069C8: D1000045 00F36545
	s_lshl_b32 s60, s60, 1                                     // 0000000069D0: 8E3C813C
	s_lshl_b32 s61, s61, 1                                     // 0000000069D4: 8E3D813D
	s_and_b32 s60, 0xfffeffff, s60                             // 0000000069D8: 863C3CFF FFFEFFFF
	s_and_b32 s61, 0xfffeffff, s61                             // 0000000069E0: 863D3DFF FFFEFFFF
	v_cndmask_b32_e64 v70, v70, v178, s[60:61]                 // 0000000069E8: D1000046 00F36546
	s_lshl_b32 s60, s60, 1                                     // 0000000069F0: 8E3C813C
	s_lshl_b32 s61, s61, 1                                     // 0000000069F4: 8E3D813D
	s_and_b32 s60, 0xfffeffff, s60                             // 0000000069F8: 863C3CFF FFFEFFFF
	s_and_b32 s61, 0xfffeffff, s61                             // 000000006A00: 863D3DFF FFFEFFFF
	v_cndmask_b32_e64 v71, v71, v178, s[60:61]                 // 000000006A08: D1000047 00F36547
	s_branch label_0AA5                                        // 000000006A10: BF820020

0000000000006a14 <label_0A85>:
	v_mov_b32_e32 v68, v178                                    // 000000006A14: 7E8803B2
	v_mov_b32_e32 v69, v178                                    // 000000006A18: 7E8A03B2
	v_mov_b32_e32 v70, v178                                    // 000000006A1C: 7E8C03B2
	v_mov_b32_e32 v71, v178                                    // 000000006A20: 7E8E03B2
	s_branch label_0AA5                                        // 000000006A24: BF82001B

0000000000006a28 <label_0A8A>:
	v_cndmask_b32_e64 v72, v72, v178, s[60:61]                 // 000000006A28: D1000048 00F36548
	s_lshl_b32 s60, s60, 1                                     // 000000006A30: 8E3C813C
	s_lshl_b32 s61, s61, 1                                     // 000000006A34: 8E3D813D
	s_and_b32 s60, 0xfffeffff, s60                             // 000000006A38: 863C3CFF FFFEFFFF
	s_and_b32 s61, 0xfffeffff, s61                             // 000000006A40: 863D3DFF FFFEFFFF
	v_cndmask_b32_e64 v73, v73, v178, s[60:61]                 // 000000006A48: D1000049 00F36549
	s_lshl_b32 s60, s60, 1                                     // 000000006A50: 8E3C813C
	s_lshl_b32 s61, s61, 1                                     // 000000006A54: 8E3D813D
	s_and_b32 s60, 0xfffeffff, s60                             // 000000006A58: 863C3CFF FFFEFFFF
	s_and_b32 s61, 0xfffeffff, s61                             // 000000006A60: 863D3DFF FFFEFFFF
	v_cndmask_b32_e64 v74, v74, v178, s[60:61]                 // 000000006A68: D100004A 00F3654A
	s_lshl_b32 s60, s60, 1                                     // 000000006A70: 8E3C813C
	s_lshl_b32 s61, s61, 1                                     // 000000006A74: 8E3D813D
	s_and_b32 s60, 0xfffeffff, s60                             // 000000006A78: 863C3CFF FFFEFFFF
	s_and_b32 s61, 0xfffeffff, s61                             // 000000006A80: 863D3DFF FFFEFFFF
	v_cndmask_b32_e64 v75, v75, v178, s[60:61]                 // 000000006A88: D100004B 00F3654B
	s_branch label_0AAA                                        // 000000006A90: BF820005

0000000000006a94 <label_0AA5>:
	v_mov_b32_e32 v72, v178                                    // 000000006A94: 7E9003B2
	v_mov_b32_e32 v73, v178                                    // 000000006A98: 7E9203B2
	v_mov_b32_e32 v74, v178                                    // 000000006A9C: 7E9403B2
	v_mov_b32_e32 v75, v178                                    // 000000006AA0: 7E9603B2
	s_branch label_0AAA                                        // 000000006AA4: BF820000

0000000000006aa8 <label_0AAA>:
	s_addk_i32 s74, 0x1                                        // 000000006AA8: B74A0001
	s_waitcnt lgkmcnt(8)                                       // 000000006AAC: BF8CC87F
	s_barrier                                                  // 000000006AB0: BF8A0000
	v_mfma_f32_16x16x16_bf16 v[76:79], v[108:109], a[72:73], 0 // 000000006AB4: D3E1004C 1202916C
	ds_read_b128 a[96:99], v18 offset:4352                     // 000000006ABC: DBFE1100 60000012
	ds_read_b128 a[100:103], v18 offset:4864                   // 000000006AC4: DBFE1300 64000012
	v_mfma_f32_16x16x16_bf16 v[76:79], v[110:111], a[74:75], v[76:79]// 000000006ACC: D3E1004C 1532956E
	v_fma_f32 v52, v52, s57, -v140                             // 000000006AD4: D1CB0034 86307334
	v_fma_f32 v53, v53, s57, -v141                             // 000000006ADC: D1CB0035 86347335
	v_fma_f32 v54, v54, s57, -v142                             // 000000006AE4: D1CB0036 86387336
	v_fma_f32 v55, v55, s57, -v143                             // 000000006AEC: D1CB0037 863C7337
	v_fma_f32 v56, v56, s57, -v140                             // 000000006AF4: D1CB0038 86307338
	v_fma_f32 v57, v57, s57, -v141                             // 000000006AFC: D1CB0039 86347339
	v_mfma_f32_16x16x16_bf16 v[76:79], v[112:113], a[76:77], v[76:79]// 000000006B04: D3E1004C 15329970
	v_fma_f32 v58, v58, s57, -v142                             // 000000006B0C: D1CB003A 8638733A
	v_fma_f32 v59, v59, s57, -v143                             // 000000006B14: D1CB003B 863C733B
	v_fma_f32 v60, v60, s57, -v140                             // 000000006B1C: D1CB003C 8630733C
	v_fma_f32 v61, v61, s57, -v141                             // 000000006B24: D1CB003D 8634733D
	v_fma_f32 v62, v62, s57, -v142                             // 000000006B2C: D1CB003E 8638733E
	v_fma_f32 v63, v63, s57, -v143                             // 000000006B34: D1CB003F 863C733F
	v_mfma_f32_16x16x16_bf16 v[76:79], v[114:115], a[78:79], v[76:79]// 000000006B3C: D3E1004C 15329D72
	v_fma_f32 v64, v64, s57, -v144                             // 000000006B44: D1CB0040 86407340
	v_fma_f32 v65, v65, s57, -v145                             // 000000006B4C: D1CB0041 86447341
	v_fma_f32 v66, v66, s57, -v146                             // 000000006B54: D1CB0042 86487342
	v_fma_f32 v67, v67, s57, -v147                             // 000000006B5C: D1CB0043 864C7343
	v_fma_f32 v68, v68, s57, -v144                             // 000000006B64: D1CB0044 86407344
	v_fma_f32 v69, v69, s57, -v145                             // 000000006B6C: D1CB0045 86447345
	v_mfma_f32_16x16x16_bf16 v[80:83], v[108:109], a[80:81], 0 // 000000006B74: D3E10050 1202A16C
	ds_read_b128 a[104:107], v18 offset:6528                   // 000000006B7C: DBFE1980 68000012
	ds_read_b128 a[108:111], v18 offset:7040                   // 000000006B84: DBFE1B80 6C000012
	v_mfma_f32_16x16x16_bf16 v[80:83], v[110:111], a[82:83], v[80:83]// 000000006B8C: D3E10050 1542A56E
	v_fma_f32 v70, v70, s57, -v146                             // 000000006B94: D1CB0046 86487346
	v_fma_f32 v71, v71, s57, -v147                             // 000000006B9C: D1CB0047 864C7347
	v_fma_f32 v72, v72, s57, -v144                             // 000000006BA4: D1CB0048 86407348
	v_fma_f32 v73, v73, s57, -v145                             // 000000006BAC: D1CB0049 86447349
	v_fma_f32 v74, v74, s57, -v146                             // 000000006BB4: D1CB004A 8648734A
	v_fma_f32 v75, v75, s57, -v147                             // 000000006BBC: D1CB004B 864C734B
	v_mfma_f32_16x16x16_bf16 v[80:83], v[112:113], a[84:85], v[80:83]// 000000006BC4: D3E10050 1542A970
	v_exp_f32_e32 v52, v52                                     // 000000006BCC: 7E684134
	v_exp_f32_e32 v53, v53                                     // 000000006BD0: 7E6A4135
	v_mfma_f32_16x16x16_bf16 v[80:83], v[114:115], a[86:87], v[80:83]// 000000006BD4: D3E10050 1542AD72
	v_exp_f32_e32 v54, v54                                     // 000000006BDC: 7E6C4136
	v_exp_f32_e32 v55, v55                                     // 000000006BE0: 7E6E4137
	v_mfma_f32_16x16x16_bf16 v[84:87], v[108:109], a[88:89], 0 // 000000006BE4: D3E10054 1202B16C
	ds_read_b32 v156, v25 offset:31232                         // 000000006BEC: D86C7A00 9C000019
	ds_read_b32 v157, v25 offset:31248                         // 000000006BF4: D86C7A10 9D000019
	v_mfma_f32_16x16x16_bf16 v[84:87], v[110:111], a[90:91], v[84:87]// 000000006BFC: D3E10054 1552B56E
	v_exp_f32_e32 v56, v56                                     // 000000006C04: 7E704138
	v_exp_f32_e32 v57, v57                                     // 000000006C08: 7E724139
	v_mfma_f32_16x16x16_bf16 v[84:87], v[112:113], a[92:93], v[84:87]// 000000006C0C: D3E10054 1552B970
	ds_read_b32 v158, v25 offset:31264                         // 000000006C14: D86C7A20 9E000019
	ds_read_b32 v159, v25 offset:31280                         // 000000006C1C: D86C7A30 9F000019
	v_mfma_f32_16x16x16_bf16 v[84:87], v[114:115], a[94:95], v[84:87]// 000000006C24: D3E10054 1552BD72
	v_exp_f32_e32 v58, v58                                     // 000000006C2C: 7E74413A
	v_exp_f32_e32 v59, v59                                     // 000000006C30: 7E76413B
	v_mfma_f32_16x16x16_bf16 v[88:91], v[116:117], a[72:73], 0 // 000000006C34: D3E10058 12029174
	v_exp_f32_e32 v60, v60                                     // 000000006C3C: 7E78413C
	v_exp_f32_e32 v61, v61                                     // 000000006C40: 7E7A413D
	v_mfma_f32_16x16x16_bf16 v[88:91], v[118:119], a[74:75], v[88:91]// 000000006C44: D3E10058 15629576
	v_exp_f32_e32 v62, v62                                     // 000000006C4C: 7E7C413E
	v_exp_f32_e32 v63, v63                                     // 000000006C50: 7E7E413F
	v_mfma_f32_16x16x16_bf16 v[88:91], v[120:121], a[76:77], v[88:91]// 000000006C54: D3E10058 15629978
	v_exp_f32_e32 v64, v64                                     // 000000006C5C: 7E804140
	v_exp_f32_e32 v65, v65                                     // 000000006C60: 7E824141
	v_mfma_f32_16x16x16_bf16 v[88:91], v[122:123], a[78:79], v[88:91]// 000000006C64: D3E10058 15629D7A
	v_exp_f32_e32 v66, v66                                     // 000000006C6C: 7E844142
	v_exp_f32_e32 v67, v67                                     // 000000006C70: 7E864143
	v_mfma_f32_16x16x16_bf16 v[92:95], v[116:117], a[80:81], 0 // 000000006C74: D3E1005C 1202A174
	v_exp_f32_e32 v68, v68                                     // 000000006C7C: 7E884144
	v_exp_f32_e32 v69, v69                                     // 000000006C80: 7E8A4145
	v_mfma_f32_16x16x16_bf16 v[92:95], v[118:119], a[82:83], v[92:95]// 000000006C84: D3E1005C 1572A576
	v_exp_f32_e32 v70, v70                                     // 000000006C8C: 7E8C4146
	v_exp_f32_e32 v71, v71                                     // 000000006C90: 7E8E4147
	v_mfma_f32_16x16x16_bf16 v[92:95], v[120:121], a[84:85], v[92:95]// 000000006C94: D3E1005C 1572A978
	v_exp_f32_e32 v72, v72                                     // 000000006C9C: 7E904148
	v_exp_f32_e32 v73, v73                                     // 000000006CA0: 7E924149
	v_mfma_f32_16x16x16_bf16 v[92:95], v[122:123], a[86:87], v[92:95]// 000000006CA4: D3E1005C 1572AD7A
	v_exp_f32_e32 v74, v74                                     // 000000006CAC: 7E94414A
	v_exp_f32_e32 v75, v75                                     // 000000006CB0: 7E96414B
	v_mfma_f32_16x16x16_bf16 v[96:99], v[116:117], a[88:89], 0 // 000000006CB4: D3E10060 1202B174
	v_perm_b32 v164, v53, v52, s64                             // 000000006CBC: D1ED00A4 01026935
	v_perm_b32 v165, v55, v54, s64                             // 000000006CC4: D1ED00A5 01026D37
	v_perm_b32 v166, v57, v56, s64                             // 000000006CCC: D1ED00A6 01027139
	v_perm_b32 v167, v59, v58, s64                             // 000000006CD4: D1ED00A7 0102753B
	v_perm_b32 v168, v61, v60, s64                             // 000000006CDC: D1ED00A8 0102793D
	v_perm_b32 v169, v63, v62, s64                             // 000000006CE4: D1ED00A9 01027D3F
	v_mfma_f32_16x16x16_bf16 v[96:99], v[118:119], a[90:91], v[96:99]// 000000006CEC: D3E10060 1582B576
	v_perm_b32 v170, v65, v64, s64                             // 000000006CF4: D1ED00AA 01028141
	v_perm_b32 v171, v67, v66, s64                             // 000000006CFC: D1ED00AB 01028543
	v_perm_b32 v172, v69, v68, s64                             // 000000006D04: D1ED00AC 01028945
	v_perm_b32 v173, v71, v70, s64                             // 000000006D0C: D1ED00AD 01028D47
	v_perm_b32 v174, v73, v72, s64                             // 000000006D14: D1ED00AE 01029149
	v_perm_b32 v175, v75, v74, s64                             // 000000006D1C: D1ED00AF 0102954B
	v_mfma_f32_16x16x16_bf16 v[96:99], v[120:121], a[92:93], v[96:99]// 000000006D24: D3E10060 1582B978
	s_add_u32 s32, s66, s32                                    // 000000006D2C: 80202042
	s_addc_u32 s33, 0, s33                                     // 000000006D30: 82212180
	v_mfma_f32_16x16x16_bf16 v[96:99], v[122:123], a[94:95], v[96:99]// 000000006D34: D3E10060 1582BD7A
	s_waitcnt lgkmcnt(0)                                       // 000000006D3C: BF8CC07F
	s_barrier                                                  // 000000006D40: BF8A0000
	v_mfma_f32_16x16x16_bf16 v[180:183], v[124:125], v[164:165], v[180:183]// 000000006D44: D3E100B4 06D3497C
	v_subrev_f32_dpp v76, v176, v76 quad_perm:[0,0,0,0] row_mask:0xf bank_mask:0xf// 000000006D4C: 069898FA FF0000B0
	v_subrev_f32_dpp v77, v176, v77 quad_perm:[1,1,1,1] row_mask:0xf bank_mask:0xf// 000000006D54: 069A9AFA FF0055B0
	v_subrev_f32_dpp v78, v176, v78 quad_perm:[2,2,2,2] row_mask:0xf bank_mask:0xf// 000000006D5C: 069C9CFA FF00AAB0
	v_subrev_f32_dpp v79, v176, v79 quad_perm:[3,3,3,3] row_mask:0xf bank_mask:0xf// 000000006D64: 069E9EFA FF00FFB0
	v_subrev_f32_dpp v80, v176, v80 quad_perm:[0,0,0,0] row_mask:0xf bank_mask:0xf// 000000006D6C: 06A0A0FA FF0000B0
	v_subrev_f32_dpp v81, v176, v81 quad_perm:[1,1,1,1] row_mask:0xf bank_mask:0xf// 000000006D74: 06A2A2FA FF0055B0
	v_mfma_f32_16x16x16_bf16 v[184:187], v[126:127], v[164:165], v[184:187]// 000000006D7C: D3E100B8 06E3497E
	v_subrev_f32_dpp v82, v176, v82 quad_perm:[2,2,2,2] row_mask:0xf bank_mask:0xf// 000000006D84: 06A4A4FA FF00AAB0
	v_subrev_f32_dpp v83, v176, v83 quad_perm:[3,3,3,3] row_mask:0xf bank_mask:0xf// 000000006D8C: 06A6A6FA FF00FFB0
	v_subrev_f32_dpp v84, v176, v84 quad_perm:[0,0,0,0] row_mask:0xf bank_mask:0xf// 000000006D94: 06A8A8FA FF0000B0
	v_subrev_f32_dpp v85, v176, v85 quad_perm:[1,1,1,1] row_mask:0xf bank_mask:0xf// 000000006D9C: 06AAAAFA FF0055B0
	v_subrev_f32_dpp v86, v176, v86 quad_perm:[2,2,2,2] row_mask:0xf bank_mask:0xf// 000000006DA4: 06ACACFA FF00AAB0
	v_subrev_f32_dpp v87, v176, v87 quad_perm:[3,3,3,3] row_mask:0xf bank_mask:0xf// 000000006DAC: 06AEAEFA FF00FFB0
	v_mfma_f32_16x16x16_bf16 v[188:191], v[128:129], v[164:165], v[188:191]// 000000006DB4: D3E100BC 06F34980
	v_mul_f32_e32 v76, v52, v76                                // 000000006DBC: 0A989934
	v_mul_f32_e32 v77, v53, v77                                // 000000006DC0: 0A9A9B35
	v_mul_f32_e32 v78, v54, v78                                // 000000006DC4: 0A9C9D36
	v_mul_f32_e32 v79, v55, v79                                // 000000006DC8: 0A9E9F37
	v_mul_f32_e32 v80, v56, v80                                // 000000006DCC: 0AA0A138
	v_mul_f32_e32 v81, v57, v81                                // 000000006DD0: 0AA2A339
	v_mfma_f32_16x16x16_bf16 v[192:195], v[130:131], v[164:165], v[192:195]// 000000006DD4: D3E100C0 07034982
	v_mul_f32_e32 v82, v58, v82                                // 000000006DDC: 0AA4A53A
	v_mul_f32_e32 v83, v59, v83                                // 000000006DE0: 0AA6A73B
	v_mul_f32_e32 v84, v60, v84                                // 000000006DE4: 0AA8A93C
	v_mul_f32_e32 v85, v61, v85                                // 000000006DE8: 0AAAAB3D
	v_mul_f32_e32 v86, v62, v86                                // 000000006DEC: 0AACAD3E
	v_mul_f32_e32 v87, v63, v87                                // 000000006DF0: 0AAEAF3F
	v_mfma_f32_16x16x16_bf16 v[196:199], v[124:125], v[166:167], v[196:199]// 000000006DF4: D3E100C4 07134D7C
	v_perm_b32 v76, v77, v76, s64                              // 000000006DFC: D1ED004C 0102994D
	v_perm_b32 v77, v79, v78, s64                              // 000000006E04: D1ED004D 01029D4F
	v_perm_b32 v78, v81, v80, s64                              // 000000006E0C: D1ED004E 0102A151
	v_perm_b32 v79, v83, v82, s64                              // 000000006E14: D1ED004F 0102A553
	v_perm_b32 v80, v85, v84, s64                              // 000000006E1C: D1ED0050 0102A955
	v_perm_b32 v81, v87, v86, s64                              // 000000006E24: D1ED0051 0102AD57
	v_mfma_f32_16x16x16_bf16 v[200:203], v[126:127], v[166:167], v[200:203]// 000000006E2C: D3E100C8 07234D7E
	v_mov_b32_dpp v22, v76 quad_perm:[1,0,3,2] row_mask:0xf bank_mask:0xf// 000000006E34: 7E2C02FA FF00B14C
	v_perm_b32 v52, v22, v76, v21                              // 000000006E3C: D1ED0034 04569916
	v_mov_b32_dpp v22, v77 quad_perm:[1,0,3,2] row_mask:0xf bank_mask:0xf// 000000006E44: 7E2C02FA FF00B14D
	v_perm_b32 v53, v22, v77, v21                              // 000000006E4C: D1ED0035 04569B16
	v_mov_b32_dpp v22, v78 quad_perm:[1,0,3,2] row_mask:0xf bank_mask:0xf// 000000006E54: 7E2C02FA FF00B14E
	v_perm_b32 v54, v22, v78, v21                              // 000000006E5C: D1ED0036 04569D16
	v_mfma_f32_16x16x16_bf16 v[204:207], v[128:129], v[166:167], v[204:207]// 000000006E64: D3E100CC 07334D80
	v_mov_b32_dpp v22, v79 quad_perm:[1,0,3,2] row_mask:0xf bank_mask:0xf// 000000006E6C: 7E2C02FA FF00B14F
	v_perm_b32 v55, v22, v79, v21                              // 000000006E74: D1ED0037 04569F16
	v_mov_b32_dpp v22, v80 quad_perm:[1,0,3,2] row_mask:0xf bank_mask:0xf// 000000006E7C: 7E2C02FA FF00B150
	v_perm_b32 v56, v22, v80, v21                              // 000000006E84: D1ED0038 0456A116
	v_mov_b32_dpp v22, v81 quad_perm:[1,0,3,2] row_mask:0xf bank_mask:0xf// 000000006E8C: 7E2C02FA FF00B151
	v_perm_b32 v57, v22, v81, v21                              // 000000006E94: D1ED0039 0456A316
	v_mfma_f32_16x16x16_bf16 v[208:211], v[130:131], v[166:167], v[208:211]// 000000006E9C: D3E100D0 07434D82
	ds_write_b32 v24, v52 offset:17408                         // 000000006EA4: D81A4400 00003418
	ds_write_b32 v24, v53 offset:17952                         // 000000006EAC: D81A4620 00003518
	v_mfma_f32_16x16x16_bf16 v[212:215], v[124:125], v[168:169], v[212:215]// 000000006EB4: D3E100D4 0753517C
	v_subrev_f32_dpp v88, v177, v88 quad_perm:[0,0,0,0] row_mask:0xf bank_mask:0xf// 000000006EBC: 06B0B0FA FF0000B1
	v_subrev_f32_dpp v89, v177, v89 quad_perm:[1,1,1,1] row_mask:0xf bank_mask:0xf// 000000006EC4: 06B2B2FA FF0055B1
	v_subrev_f32_dpp v90, v177, v90 quad_perm:[2,2,2,2] row_mask:0xf bank_mask:0xf// 000000006ECC: 06B4B4FA FF00AAB1
	v_subrev_f32_dpp v91, v177, v91 quad_perm:[3,3,3,3] row_mask:0xf bank_mask:0xf// 000000006ED4: 06B6B6FA FF00FFB1
	v_subrev_f32_dpp v92, v177, v92 quad_perm:[0,0,0,0] row_mask:0xf bank_mask:0xf// 000000006EDC: 06B8B8FA FF0000B1
	v_subrev_f32_dpp v93, v177, v93 quad_perm:[1,1,1,1] row_mask:0xf bank_mask:0xf// 000000006EE4: 06BABAFA FF0055B1
	v_mfma_f32_16x16x16_bf16 v[216:219], v[126:127], v[168:169], v[216:219]// 000000006EEC: D3E100D8 0763517E
	ds_write_b32 v24, v54 offset:19712                         // 000000006EF4: D81A4D00 00003618
	ds_write_b32 v24, v55 offset:20256                         // 000000006EFC: D81A4F20 00003718
	v_mfma_f32_16x16x16_bf16 v[220:223], v[128:129], v[168:169], v[220:223]// 000000006F04: D3E100DC 07735180
	v_subrev_f32_dpp v94, v177, v94 quad_perm:[2,2,2,2] row_mask:0xf bank_mask:0xf// 000000006F0C: 06BCBCFA FF00AAB1
	v_subrev_f32_dpp v95, v177, v95 quad_perm:[3,3,3,3] row_mask:0xf bank_mask:0xf// 000000006F14: 06BEBEFA FF00FFB1
	v_subrev_f32_dpp v96, v177, v96 quad_perm:[0,0,0,0] row_mask:0xf bank_mask:0xf// 000000006F1C: 06C0C0FA FF0000B1
	v_subrev_f32_dpp v97, v177, v97 quad_perm:[1,1,1,1] row_mask:0xf bank_mask:0xf// 000000006F24: 06C2C2FA FF0055B1
	v_subrev_f32_dpp v98, v177, v98 quad_perm:[2,2,2,2] row_mask:0xf bank_mask:0xf// 000000006F2C: 06C4C4FA FF00AAB1
	v_subrev_f32_dpp v99, v177, v99 quad_perm:[3,3,3,3] row_mask:0xf bank_mask:0xf// 000000006F34: 06C6C6FA FF00FFB1
	v_mfma_f32_16x16x16_bf16 v[224:227], v[130:131], v[168:169], v[224:227]// 000000006F3C: D3E100E0 07835182
	ds_write_b32 v24, v56 offset:22016                         // 000000006F44: D81A5600 00003818
	ds_write_b32 v24, v57 offset:22560                         // 000000006F4C: D81A5820 00003918
	v_mfma_f32_16x16x16_bf16 v[180:183], v[132:133], v[170:171], v[180:183]// 000000006F54: D3E100B4 06D35584
	v_mul_f32_e32 v88, v64, v88                                // 000000006F5C: 0AB0B140
	v_mul_f32_e32 v89, v65, v89                                // 000000006F60: 0AB2B341
	v_mul_f32_e32 v90, v66, v90                                // 000000006F64: 0AB4B542
	v_mul_f32_e32 v91, v67, v91                                // 000000006F68: 0AB6B743
	v_mul_f32_e32 v92, v68, v92                                // 000000006F6C: 0AB8B944
	v_mul_f32_e32 v93, v69, v93                                // 000000006F70: 0ABABB45
	v_mfma_f32_16x16x16_bf16 v[184:187], v[134:135], v[170:171], v[184:187]// 000000006F74: D3E100B8 06E35586
	v_mul_f32_e32 v94, v70, v94                                // 000000006F7C: 0ABCBD46
	v_mul_f32_e32 v95, v71, v95                                // 000000006F80: 0ABEBF47
	v_mul_f32_e32 v96, v72, v96                                // 000000006F84: 0AC0C148
	v_mul_f32_e32 v97, v73, v97                                // 000000006F88: 0AC2C349
	v_mul_f32_e32 v98, v74, v98                                // 000000006F8C: 0AC4C54A
	v_mul_f32_e32 v99, v75, v99                                // 000000006F90: 0AC6C74B
	v_mfma_f32_16x16x16_bf16 v[188:191], v[136:137], v[170:171], v[188:191]// 000000006F94: D3E100BC 06F35588
	v_perm_b32 v82, v89, v88, s64                              // 000000006F9C: D1ED0052 0102B159
	v_perm_b32 v83, v91, v90, s64                              // 000000006FA4: D1ED0053 0102B55B
	v_perm_b32 v84, v93, v92, s64                              // 000000006FAC: D1ED0054 0102B95D
	v_perm_b32 v85, v95, v94, s64                              // 000000006FB4: D1ED0055 0102BD5F
	v_perm_b32 v86, v97, v96, s64                              // 000000006FBC: D1ED0056 0102C161
	v_perm_b32 v87, v99, v98, s64                              // 000000006FC4: D1ED0057 0102C563
	v_mfma_f32_16x16x16_bf16 v[192:195], v[138:139], v[170:171], v[192:195]// 000000006FCC: D3E100C0 0703558A
	v_mov_b32_dpp v22, v82 quad_perm:[1,0,3,2] row_mask:0xf bank_mask:0xf// 000000006FD4: 7E2C02FA FF00B152
	v_perm_b32 v58, v22, v82, v21                              // 000000006FDC: D1ED003A 0456A516
	v_mov_b32_dpp v22, v83 quad_perm:[1,0,3,2] row_mask:0xf bank_mask:0xf// 000000006FE4: 7E2C02FA FF00B153
	v_perm_b32 v59, v22, v83, v21                              // 000000006FEC: D1ED003B 0456A716
	v_mov_b32_dpp v22, v84 quad_perm:[1,0,3,2] row_mask:0xf bank_mask:0xf// 000000006FF4: 7E2C02FA FF00B154
	v_perm_b32 v60, v22, v84, v21                              // 000000006FFC: D1ED003C 0456A916
	v_mfma_f32_16x16x16_bf16 v[196:199], v[132:133], v[172:173], v[196:199]// 000000007004: D3E100C4 07135984
	v_mov_b32_dpp v22, v85 quad_perm:[1,0,3,2] row_mask:0xf bank_mask:0xf// 00000000700C: 7E2C02FA FF00B155
	v_perm_b32 v61, v22, v85, v21                              // 000000007014: D1ED003D 0456AB16
	v_mov_b32_dpp v22, v86 quad_perm:[1,0,3,2] row_mask:0xf bank_mask:0xf// 00000000701C: 7E2C02FA FF00B156
	v_perm_b32 v62, v22, v86, v21                              // 000000007024: D1ED003E 0456AD16
	v_mov_b32_dpp v22, v87 quad_perm:[1,0,3,2] row_mask:0xf bank_mask:0xf// 00000000702C: 7E2C02FA FF00B157
	v_perm_b32 v63, v22, v87, v21                              // 000000007034: D1ED003F 0456AF16
	v_mfma_f32_16x16x16_bf16 v[200:203], v[134:135], v[172:173], v[200:203]// 00000000703C: D3E100C8 07235986
	ds_write_b32 v24, v58 offset:24320                         // 000000007044: D81A5F00 00003A18
	ds_write_b32 v24, v59 offset:24864                         // 00000000704C: D81A6120 00003B18
	v_mfma_f32_16x16x16_bf16 v[204:207], v[136:137], v[172:173], v[204:207]// 000000007054: D3E100CC 07335988
	v_mfma_f32_16x16x16_bf16 v[208:211], v[138:139], v[172:173], v[208:211]// 00000000705C: D3E100D0 0743598A
	ds_write_b32 v24, v60 offset:26624                         // 000000007064: D81A6800 00003C18
	ds_write_b32 v24, v61 offset:27168                         // 00000000706C: D81A6A20 00003D18
	ds_write_b32 v24, v62 offset:28928                         // 000000007074: D81A7100 00003E18
	ds_write_b32 v24, v63 offset:29472                         // 00000000707C: D81A7320 00003F18
	v_mfma_f32_16x16x16_bf16 v[212:215], v[132:133], v[174:175], v[212:215]// 000000007084: D3E100D4 07535D84
	v_mfma_f32_16x16x16_bf16 v[216:219], v[134:135], v[174:175], v[216:219]// 00000000708C: D3E100D8 07635D86
	ds_write_b32 v19, v100 offset:4352                         // 000000007094: D81A1100 00006413
	ds_write_b32 v19, v101 offset:5408                         // 00000000709C: D81A1520 00006513
	v_mfma_f32_16x16x16_bf16 v[220:223], v[136:137], v[174:175], v[220:223]// 0000000070A4: D3E100DC 07735D88
	s_nop 0                                                    // 0000000070AC: BF800000
	s_nop 0                                                    // 0000000070B0: BF800000
	s_nop 0                                                    // 0000000070B4: BF800000
	v_mfma_f32_16x16x16_bf16 v[224:227], v[138:139], v[174:175], v[224:227]// 0000000070B8: D3E100E0 07835D8A
	ds_write_b32 v19, v102 offset:6528                         // 0000000070C0: D81A1980 00006613
	ds_write_b32 v19, v103 offset:7584                         // 0000000070C8: D81A1DA0 00006713
	s_barrier                                                  // 0000000070D0: BF8A0000
	v_mfma_f32_16x16x16_bf16 a[112:115], a[96:97], v[76:77], a[112:115]// 0000000070D4: D3E18070 0DC29960
	global_atomic_pk_add_bf16 v6, v156, s[32:33]               // 0000000070DC: DD488000 00209C06
	v_mfma_f32_16x16x16_bf16 a[116:119], a[98:99], v[76:77], a[116:119]// 0000000070E4: D3E18074 0DD29962
	ds_read_b32 v140, v27 offset:35584                         // 0000000070EC: D86C8B00 8C00001B
	ds_read_b32 v144, v27 offset:35648                         // 0000000070F4: D86C8B40 9000001B
	ds_read_b32 v176, v27 offset:35840                         // 0000000070FC: D86C8C00 B000001B
	ds_read_b32 v177, v27 offset:35904                         // 000000007104: D86C8C40 B100001B
	v_mfma_f32_16x16x16_bf16 a[120:123], a[100:101], v[76:77], a[120:123]// 00000000710C: D3E18078 0DE29964
	s_waitcnt lgkmcnt(8)                                       // 000000007114: BF8CC87F
	s_barrier                                                  // 000000007118: BF8A0000
	v_mfma_f32_16x16x16_bf16 a[124:127], a[102:103], v[76:77], a[124:127]// 00000000711C: D3E1807C 0DF29966
	ds_read_b128 v[52:55], v23 offset:17408                    // 000000007124: D9FE4400 34000017
	v_mfma_f32_16x16x16_bf16 a[128:131], a[96:97], v[78:79], a[128:131]// 00000000712C: D3E18080 0E029D60
	v_mfma_f32_16x16x16_bf16 a[132:135], a[98:99], v[78:79], a[132:135]// 000000007134: D3E18084 0E129D62
	ds_read_b128 v[56:59], v23 offset:18560                    // 00000000713C: D9FE4880 38000017
	v_mfma_f32_16x16x16_bf16 a[136:139], a[100:101], v[78:79], a[136:139]// 000000007144: D3E18088 0E229D64
	global_atomic_pk_add_bf16 v8, v157, s[32:33]               // 00000000714C: DD488000 00209D08
	v_mfma_f32_16x16x16_bf16 a[140:143], a[102:103], v[78:79], a[140:143]// 000000007154: D3E1808C 0E329D66
	ds_read_b128 v[60:63], v23 offset:19712                    // 00000000715C: D9FE4D00 3C000017
	v_mfma_f32_16x16x16_bf16 a[144:147], a[96:97], v[80:81], a[144:147]// 000000007164: D3E18090 0E42A160
	v_mfma_f32_16x16x16_bf16 a[148:151], a[98:99], v[80:81], a[148:151]// 00000000716C: D3E18094 0E52A162
	ds_read_b128 v[64:67], v23 offset:20864                    // 000000007174: D9FE5180 40000017
	v_mfma_f32_16x16x16_bf16 a[152:155], a[100:101], v[80:81], a[152:155]// 00000000717C: D3E18098 0E62A164
	v_mfma_f32_16x16x16_bf16 a[156:159], a[102:103], v[80:81], a[156:159]// 000000007184: D3E1809C 0E72A166
	ds_read_b128 v[68:71], v23 offset:22016                    // 00000000718C: D9FE5600 44000017
	v_mfma_f32_16x16x16_bf16 a[112:115], a[104:105], v[82:83], a[112:115]// 000000007194: D3E18070 0DC2A568
	global_atomic_pk_add_bf16 v10, v158, s[32:33]              // 00000000719C: DD488000 00209E0A
	v_mfma_f32_16x16x16_bf16 a[116:119], a[106:107], v[82:83], a[116:119]// 0000000071A4: D3E18074 0DD2A56A
	ds_read_b128 v[72:75], v23 offset:23168                    // 0000000071AC: D9FE5A80 48000017
	v_mfma_f32_16x16x16_bf16 a[120:123], a[108:109], v[82:83], a[120:123]// 0000000071B4: D3E18078 0DE2A56C
	v_mfma_f32_16x16x16_bf16 a[124:127], a[110:111], v[82:83], a[124:127]// 0000000071BC: D3E1807C 0DF2A56E
	ds_write_b32 v19, v104 offset:13056                        // 0000000071C4: D81A3300 00006813
	v_mfma_f32_16x16x16_bf16 a[128:131], a[104:105], v[84:85], a[128:131]// 0000000071CC: D3E18080 0E02A968
	v_mfma_f32_16x16x16_bf16 a[132:135], a[106:107], v[84:85], a[132:135]// 0000000071D4: D3E18084 0E12A96A
	ds_write_b32 v19, v105 offset:14112                        // 0000000071DC: D81A3720 00006913
	v_mfma_f32_16x16x16_bf16 a[136:139], a[108:109], v[84:85], a[136:139]// 0000000071E4: D3E18088 0E22A96C
	global_atomic_pk_add_bf16 v12, v159, s[32:33]              // 0000000071EC: DD488000 00209F0C
	v_mfma_f32_16x16x16_bf16 a[140:143], a[110:111], v[84:85], a[140:143]// 0000000071F4: D3E1808C 0E32A96E
	ds_write_b32 v19, v106 offset:15232                        // 0000000071FC: D81A3B80 00006A13
	v_mfma_f32_16x16x16_bf16 a[144:147], a[104:105], v[86:87], a[144:147]// 000000007204: D3E18090 0E42AD68
	v_mfma_f32_16x16x16_bf16 a[148:151], a[106:107], v[86:87], a[148:151]// 00000000720C: D3E18094 0E52AD6A
	ds_write_b32 v19, v107 offset:16288                        // 000000007214: D81A3FA0 00006B13
	v_mfma_f32_16x16x16_bf16 a[152:155], a[108:109], v[86:87], a[152:155]// 00000000721C: D3E18098 0E62AD6C
	v_mfma_f32_16x16x16_bf16 a[156:159], a[110:111], v[86:87], a[156:159]// 000000007224: D3E1809C 0E72AD6E
	s_waitcnt vmcnt(4) lgkmcnt(4)                              // 00000000722C: BF8C0474
	s_barrier                                                  // 000000007230: BF8A0000
	v_mfma_f32_16x16x16_bf16 v[148:151], a[24:25], v[52:53], 0 // 000000007234: D3E10094 0A026918
	v_mul_f32_e32 v140, s49, v140                              // 00000000723C: 0B191831
	v_mul_f32_e32 v144, s49, v144                              // 000000007240: 0B212031
	s_nop 0                                                    // 000000007244: BF800000
	v_mfma_f32_16x16x16_bf16 v[148:151], a[28:29], v[54:55], v[148:151]// 000000007248: D3E10094 0E526D1C
	ds_read_b128 a[96:99], v16                                 // 000000007250: DBFE0000 60000010
	buffer_load_dword v36, v1, s[8:11], 0 idxen                // 000000007258: E0502000 80022401
	v_mfma_f32_16x16x16_bf16 v[148:151], a[32:33], v[56:57], v[148:151]// 000000007260: D3E10094 0E527120
	v_mfma_f32_16x16x16_bf16 v[148:151], a[36:37], v[58:59], v[148:151]// 000000007268: D3E10094 0E527524
	ds_read_b128 a[100:103], v16 offset:512                    // 000000007270: DBFE0200 64000010
	buffer_load_dword v37, v2, s[8:11], 0 idxen                // 000000007278: E0502000 80022502
	v_mfma_f32_16x16x16_bf16 v[148:151], a[40:41], v[60:61], v[148:151]// 000000007280: D3E10094 0E527928
	v_perm_b32 v100, v41, v40, s63                             // 000000007288: D1ED0064 00FE5129
	v_perm_b32 v101, v41, v40, s64                             // 000000007290: D1ED0065 01025129
	v_mfma_f32_16x16x16_bf16 v[148:151], a[44:45], v[62:63], v[148:151]// 000000007298: D3E10094 0E527D2C
	ds_read_b128 a[104:107], v16 offset:2176                   // 0000000072A0: DBFE0880 68000010
	buffer_load_dword v38, v3, s[8:11], 0 idxen                // 0000000072A8: E0502000 80022603
	v_mfma_f32_16x16x16_bf16 v[148:151], a[48:49], v[64:65], v[148:151]// 0000000072B0: D3E10094 0E528130
	v_perm_b32 v102, v43, v42, s63                             // 0000000072B8: D1ED0066 00FE552B
	v_perm_b32 v103, v43, v42, s64                             // 0000000072C0: D1ED0067 0102552B
	v_mfma_f32_16x16x16_bf16 v[148:151], a[52:53], v[66:67], v[148:151]// 0000000072C8: D3E10094 0E528534
	ds_read_b128 a[108:111], v16 offset:2688                   // 0000000072D0: DBFE0A80 6C000010
	buffer_load_dword v39, v4, s[8:11], 0 idxen                // 0000000072D8: E0502000 80022704
	v_mfma_f32_16x16x16_bf16 v[148:151], a[56:57], v[68:69], v[148:151]// 0000000072E0: D3E10094 0E528938
	v_perm_b32 v104, v49, v48, s63                             // 0000000072E8: D1ED0068 00FE6131
	v_perm_b32 v105, v49, v48, s64                             // 0000000072F0: D1ED0069 01026131
	v_mfma_f32_16x16x16_bf16 v[148:151], a[60:61], v[70:71], v[148:151]// 0000000072F8: D3E10094 0E528D3C
	ds_read_b128 v[108:111], v16 offset:8704                   // 000000007300: D9FE2200 6C000010
	buffer_load_dword v44, v1, s[20:23], 0 idxen               // 000000007308: E0502000 80052C01
	v_mfma_f32_16x16x16_bf16 v[148:151], a[64:65], v[72:73], v[148:151]// 000000007310: D3E10094 0E529140
	v_perm_b32 v106, v51, v50, s63                             // 000000007318: D1ED006A 00FE6533
	v_perm_b32 v107, v51, v50, s64                             // 000000007320: D1ED006B 01026533
	v_mfma_f32_16x16x16_bf16 v[148:151], a[68:69], v[74:75], v[148:151]// 000000007328: D3E10094 0E529544
	ds_read_b128 v[112:115], v16 offset:9216                   // 000000007330: D9FE2400 70000010
	buffer_load_dword v45, v2, s[20:23], 0 idxen               // 000000007338: E0502000 80052D02
	v_mfma_f32_16x16x16_bf16 v[152:155], a[26:27], v[52:53], 0 // 000000007340: D3E10098 0A02691A
	v_mov_b32_dpp v143, v140 quad_perm:[3,3,3,3] row_mask:0xf bank_mask:0xf// 000000007348: 7F1E02FA FF00FF8C
	v_mov_b32_dpp v142, v140 quad_perm:[2,2,2,2] row_mask:0xf bank_mask:0xf// 000000007350: 7F1C02FA FF00AA8C
	v_mov_b32_dpp v141, v140 quad_perm:[1,1,1,1] row_mask:0xf bank_mask:0xf// 000000007358: 7F1A02FA FF00558C
	v_mov_b32_dpp v140, v140 quad_perm:[0,0,0,0] row_mask:0xf bank_mask:0xf// 000000007360: 7F1802FA FF00008C
	v_mfma_f32_16x16x16_bf16 v[152:155], a[30:31], v[54:55], v[152:155]// 000000007368: D3E10098 0E626D1E
	ds_read_b128 v[116:119], v16 offset:10880                  // 000000007370: D9FE2A80 74000010
	buffer_load_dword v46, v3, s[20:23], 0 idxen               // 000000007378: E0502000 80052E03
	v_mfma_f32_16x16x16_bf16 v[152:155], a[34:35], v[56:57], v[152:155]// 000000007380: D3E10098 0E627122
	v_mov_b32_dpp v147, v144 quad_perm:[3,3,3,3] row_mask:0xf bank_mask:0xf// 000000007388: 7F2602FA FF00FF90
	v_mov_b32_dpp v146, v144 quad_perm:[2,2,2,2] row_mask:0xf bank_mask:0xf// 000000007390: 7F2402FA FF00AA90
	v_mov_b32_dpp v145, v144 quad_perm:[1,1,1,1] row_mask:0xf bank_mask:0xf// 000000007398: 7F2202FA FF005590
	v_mov_b32_dpp v144, v144 quad_perm:[0,0,0,0] row_mask:0xf bank_mask:0xf// 0000000073A0: 7F2002FA FF000090
	s_add_u32 s60, 0x80, s59                                   // 0000000073A8: 803C3BFF 00000080
	v_mfma_f32_16x16x16_bf16 v[152:155], a[38:39], v[58:59], v[152:155]// 0000000073B0: D3E10098 0E627526
	ds_read_b128 v[120:123], v16 offset:11392                  // 0000000073B8: D9FE2C80 78000010
	buffer_load_dword v47, v4, s[20:23], 0 idxen               // 0000000073C0: E0502000 80052F04
	v_mfma_f32_16x16x16_bf16 v[152:155], a[42:43], v[60:61], v[152:155]// 0000000073C8: D3E10098 0E62792A
	s_cmp_lt_u32 s60, s58                                      // 0000000073D0: BF0A3A3C
	s_cselect_b32 s68, s68, 0                                  // 0000000073D4: 85448044
	s_cselect_b32 s69, s69, 0                                  // 0000000073D8: 85458045
	v_mfma_f32_16x16x16_bf16 v[152:155], a[46:47], v[62:63], v[152:155]// 0000000073DC: D3E10098 0E627D2E
	buffer_load_dword v15, s[24:27], 0 idxen lds               // 0000000073E4: E0512000 8006000F
	v_mfma_f32_16x16x16_bf16 v[152:155], a[50:51], v[64:65], v[152:155]// 0000000073EC: D3E10098 0E628132
	s_add_u32 s8, s68, s8                                      // 0000000073F4: 80080844
	s_addc_u32 s9, 0, s9                                       // 0000000073F8: 82090980
	v_mfma_f32_16x16x16_bf16 v[152:155], a[54:55], v[66:67], v[152:155]// 0000000073FC: D3E10098 0E628536
	s_add_u32 s20, s68, s20                                    // 000000007404: 80141444
	s_addc_u32 s21, 0, s21                                     // 000000007408: 82151580
	v_mfma_f32_16x16x16_bf16 v[152:155], a[58:59], v[68:69], v[152:155]// 00000000740C: D3E10098 0E62893A
	s_mov_b32 m0, s81                                          // 000000007414: BEFC0051
	v_add_u32_e32 v15, s69, v15                                // 000000007418: 681E1E45
	v_mfma_f32_16x16x16_bf16 v[152:155], a[62:63], v[70:71], v[152:155]// 00000000741C: D3E10098 0E628D3E
	s_cmp_ge_u32 s59, s73                                      // 000000007424: BF09493B
	s_cselect_b32 s66, s67, s66                                // 000000007428: 85424243
	v_mfma_f32_16x16x16_bf16 v[152:155], a[66:67], v[72:73], v[152:155]// 00000000742C: D3E10098 0E629142
	s_addk_i32 s59, 0x20                                       // 000000007434: B73B0020
	s_nop 0                                                    // 000000007438: BF800000
	s_cmp_lt_i32 s59, s58                                      // 00000000743C: BF043A3B
	v_mfma_f32_16x16x16_bf16 v[152:155], a[70:71], v[74:75], v[152:155]// 000000007440: D3E10098 0E629546
	s_cbranch_scc0 label_0D14                                  // 000000007448: BF840001
	s_branch label_05B5                                        // 00000000744C: BF82F8A1

0000000000007450 <label_0D14>:
	s_nop 0                                                    // 000000007450: BF800000
	s_nop 0                                                    // 000000007454: BF800000
	s_branch label_1476                                        // 000000007458: BF82075F

000000000000745c <label_0D17>:
	s_waitcnt lgkmcnt(4)                                       // 00000000745C: BF8CC47F
	s_barrier                                                  // 000000007460: BF8A0000
	v_mfma_f32_16x16x16_bf16 v[52:55], a[96:97], a[0:1], 0     // 000000007464: D3E10034 1A020160
	v_mul_f32_e32 v148, s48, v148                              // 00000000746C: 0B292830
	v_mul_f32_e32 v149, s48, v149                              // 000000007470: 0B2B2A30
	v_mfma_f32_16x16x16_bf16 v[52:55], a[98:99], a[2:3], v[52:55]// 000000007474: D3E10034 1CD20562
	ds_write_b32 v17, v48 offset:8704                          // 00000000747C: D81A2200 00003011
	ds_write_b32 v17, v49 offset:9760                          // 000000007484: D81A2620 00003111
	v_mfma_f32_16x16x16_bf16 v[52:55], a[100:101], a[4:5], v[52:55]// 00000000748C: D3E10034 1CD20964
	v_mul_f32_e32 v150, s48, v150                              // 000000007494: 0B2D2C30
	v_mul_f32_e32 v151, s48, v151                              // 000000007498: 0B2F2E30
	v_mfma_f32_16x16x16_bf16 v[52:55], a[102:103], a[6:7], v[52:55]// 00000000749C: D3E10034 1CD20D66
	ds_write_b32 v17, v50 offset:10880                         // 0000000074A4: D81A2A80 00003211
	ds_write_b32 v17, v51 offset:11936                         // 0000000074AC: D81A2EA0 00003311
	v_mfma_f32_16x16x16_bf16 v[56:59], a[96:97], a[8:9], 0     // 0000000074B4: D3E10038 1A021160
	v_mul_f32_e32 v152, s48, v152                              // 0000000074BC: 0B313030
	v_mul_f32_e32 v153, s48, v153                              // 0000000074C0: 0B333230
	v_mfma_f32_16x16x16_bf16 v[56:59], a[98:99], a[10:11], v[56:59]// 0000000074C4: D3E10038 1CE21562
	v_mul_f32_e32 v154, s48, v154                              // 0000000074CC: 0B353430
	v_mul_f32_e32 v155, s48, v155                              // 0000000074D0: 0B373630
	v_mfma_f32_16x16x16_bf16 v[56:59], a[100:101], a[12:13], v[56:59]// 0000000074D4: D3E10038 1CE21964
	v_perm_b32 v148, v149, v148, s64                           // 0000000074DC: D1ED0094 01032995
	v_perm_b32 v149, v151, v150, s64                           // 0000000074E4: D1ED0095 01032D97
	v_mfma_f32_16x16x16_bf16 v[56:59], a[102:103], a[14:15], v[56:59]// 0000000074EC: D3E10038 1CE21D66
	v_perm_b32 v150, v153, v152, s64                           // 0000000074F4: D1ED0096 01033199
	v_perm_b32 v151, v155, v154, s64                           // 0000000074FC: D1ED0097 0103359B
	v_mfma_f32_16x16x16_bf16 v[60:63], a[96:97], a[16:17], 0   // 000000007504: D3E1003C 1A022160
	v_mfma_f32_16x16x16_bf16 v[60:63], a[98:99], a[18:19], v[60:63]// 00000000750C: D3E1003C 1CF22562
	ds_write_b64 v26, v[148:149] offset:31232                  // 000000007514: D89A7A00 0000941A
	v_mfma_f32_16x16x16_bf16 v[60:63], a[100:101], a[20:21], v[60:63]// 00000000751C: D3E1003C 1CF22964
	v_mfma_f32_16x16x16_bf16 v[60:63], a[102:103], a[22:23], v[60:63]// 000000007524: D3E1003C 1CF22D66
	ds_write_b64 v26, v[150:151] offset:31776                  // 00000000752C: D89A7C20 0000961A
	v_mfma_f32_16x16x16_bf16 v[64:67], a[104:105], a[0:1], 0   // 000000007534: D3E10040 1A020168
	v_mfma_f32_16x16x16_bf16 v[64:67], a[106:107], a[2:3], v[64:67]// 00000000753C: D3E10040 1D02056A
	ds_read_b128 v[124:127], v18 offset:13056                  // 000000007544: D9FE3300 7C000012
	ds_write_b32 v17, v40                                      // 00000000754C: D81A0000 00002811
	v_mfma_f32_16x16x16_bf16 v[64:67], a[108:109], a[4:5], v[64:67]// 000000007554: D3E10040 1D02096C
	v_mfma_f32_16x16x16_bf16 v[64:67], a[110:111], a[6:7], v[64:67]// 00000000755C: D3E10040 1D020D6E
	v_mfma_f32_16x16x16_bf16 v[68:71], a[104:105], a[8:9], 0   // 000000007564: D3E10044 1A021168
	ds_read_b128 v[128:131], v18 offset:13568                  // 00000000756C: D9FE3500 80000012
	ds_write_b32 v17, v41 offset:1056                          // 000000007574: D81A0420 00002911
	v_mfma_f32_16x16x16_bf16 v[68:71], a[106:107], a[10:11], v[68:71]// 00000000757C: D3E10044 1D12156A
	v_mfma_f32_16x16x16_bf16 v[68:71], a[108:109], a[12:13], v[68:71]// 000000007584: D3E10044 1D12196C
	v_mfma_f32_16x16x16_bf16 v[68:71], a[110:111], a[14:15], v[68:71]// 00000000758C: D3E10044 1D121D6E
	ds_read_b128 v[132:135], v18 offset:15232                  // 000000007594: D9FE3B80 84000012
	ds_write_b32 v17, v42 offset:2176                          // 00000000759C: D81A0880 00002A11
	v_mfma_f32_16x16x16_bf16 v[72:75], a[104:105], a[16:17], 0 // 0000000075A4: D3E10048 1A022168
	v_mfma_f32_16x16x16_bf16 v[72:75], a[106:107], a[18:19], v[72:75]// 0000000075AC: D3E10048 1D22256A
	v_mfma_f32_16x16x16_bf16 v[72:75], a[108:109], a[20:21], v[72:75]// 0000000075B4: D3E10048 1D22296C
	ds_read_b128 v[136:139], v18 offset:15744                  // 0000000075BC: D9FE3D80 88000012
	ds_write_b32 v17, v43 offset:3232                          // 0000000075C4: D81A0CA0 00002B11
	v_mfma_f32_16x16x16_bf16 v[72:75], a[110:111], a[22:23], v[72:75]// 0000000075CC: D3E10048 1D222D6E
	s_cmp_lt_i32 s74, 12                                       // 0000000075D4: BF048C4A
	s_cbranch_scc0 label_0E5D                                  // 0000000075D8: BF8400E6
	s_mov_b32 s60, 0xffe0fffe                                  // 0000000075DC: BEBC00FF FFE0FFFE
	s_mov_b32 s61, 0xe000fe00                                  // 0000000075E4: BEBD00FF E000FE00
	s_nop 0                                                    // 0000000075EC: BF800000
	s_add_u32 s62, 0, s47                                      // 0000000075F0: 803E2F80
	s_cmp_lt_i32 s74, s62                                      // 0000000075F4: BF043E4A
	s_cbranch_scc1 label_0DA7                                  // 0000000075F8: BF850028
	s_cmp_eq_i32 s74, s62                                      // 0000000075FC: BF003E4A
	s_cbranch_scc1 label_0D8C                                  // 000000007600: BF85000B
	s_add_u32 s62, 4, s47                                      // 000000007604: 803E2F84
	s_cmp_lt_i32 s74, s62                                      // 000000007608: BF043E4A
	s_cbranch_scc1 label_0DC7                                  // 00000000760C: BF850043
	s_cmp_eq_i32 s74, s62                                      // 000000007610: BF003E4A
	s_cbranch_scc1 label_0DAC                                  // 000000007614: BF850026
	s_add_u32 s62, 8, s47                                      // 000000007618: 803E2F88
	s_cmp_lt_i32 s74, s62                                      // 00000000761C: BF043E4A
	s_cbranch_scc1 label_0DE7                                  // 000000007620: BF85005E
	s_cmp_eq_i32 s74, s62                                      // 000000007624: BF003E4A
	s_cbranch_scc1 label_0DCC                                  // 000000007628: BF850041
	s_branch label_0DEC                                        // 00000000762C: BF820060

0000000000007630 <label_0D8C>:
	v_cndmask_b32_e64 v52, v52, v178, s[60:61]                 // 000000007630: D1000034 00F36534
	s_lshl_b32 s60, s60, 1                                     // 000000007638: 8E3C813C
	s_lshl_b32 s61, s61, 1                                     // 00000000763C: 8E3D813D
	s_and_b32 s60, 0xfffeffff, s60                             // 000000007640: 863C3CFF FFFEFFFF
	s_and_b32 s61, 0xfffeffff, s61                             // 000000007648: 863D3DFF FFFEFFFF
	v_cndmask_b32_e64 v53, v53, v178, s[60:61]                 // 000000007650: D1000035 00F36535
	s_lshl_b32 s60, s60, 1                                     // 000000007658: 8E3C813C
	s_lshl_b32 s61, s61, 1                                     // 00000000765C: 8E3D813D
	s_and_b32 s60, 0xfffeffff, s60                             // 000000007660: 863C3CFF FFFEFFFF
	s_and_b32 s61, 0xfffeffff, s61                             // 000000007668: 863D3DFF FFFEFFFF
	v_cndmask_b32_e64 v54, v54, v178, s[60:61]                 // 000000007670: D1000036 00F36536
	s_lshl_b32 s60, s60, 1                                     // 000000007678: 8E3C813C
	s_lshl_b32 s61, s61, 1                                     // 00000000767C: 8E3D813D
	s_and_b32 s60, 0xfffeffff, s60                             // 000000007680: 863C3CFF FFFEFFFF
	s_and_b32 s61, 0xfffeffff, s61                             // 000000007688: 863D3DFF FFFEFFFF
	v_cndmask_b32_e64 v55, v55, v178, s[60:61]                 // 000000007690: D1000037 00F36537
	s_branch label_0DC7                                        // 000000007698: BF820020

000000000000769c <label_0DA7>:
	v_mov_b32_e32 v52, v178                                    // 00000000769C: 7E6803B2
	v_mov_b32_e32 v53, v178                                    // 0000000076A0: 7E6A03B2
	v_mov_b32_e32 v54, v178                                    // 0000000076A4: 7E6C03B2
	v_mov_b32_e32 v55, v178                                    // 0000000076A8: 7E6E03B2
	s_branch label_0DC7                                        // 0000000076AC: BF82001B

00000000000076b0 <label_0DAC>:
	v_cndmask_b32_e64 v56, v56, v178, s[60:61]                 // 0000000076B0: D1000038 00F36538
	s_lshl_b32 s60, s60, 1                                     // 0000000076B8: 8E3C813C
	s_lshl_b32 s61, s61, 1                                     // 0000000076BC: 8E3D813D
	s_and_b32 s60, 0xfffeffff, s60                             // 0000000076C0: 863C3CFF FFFEFFFF
	s_and_b32 s61, 0xfffeffff, s61                             // 0000000076C8: 863D3DFF FFFEFFFF
	v_cndmask_b32_e64 v57, v57, v178, s[60:61]                 // 0000000076D0: D1000039 00F36539
	s_lshl_b32 s60, s60, 1                                     // 0000000076D8: 8E3C813C
	s_lshl_b32 s61, s61, 1                                     // 0000000076DC: 8E3D813D
	s_and_b32 s60, 0xfffeffff, s60                             // 0000000076E0: 863C3CFF FFFEFFFF
	s_and_b32 s61, 0xfffeffff, s61                             // 0000000076E8: 863D3DFF FFFEFFFF
	v_cndmask_b32_e64 v58, v58, v178, s[60:61]                 // 0000000076F0: D100003A 00F3653A
	s_lshl_b32 s60, s60, 1                                     // 0000000076F8: 8E3C813C
	s_lshl_b32 s61, s61, 1                                     // 0000000076FC: 8E3D813D
	s_and_b32 s60, 0xfffeffff, s60                             // 000000007700: 863C3CFF FFFEFFFF
	s_and_b32 s61, 0xfffeffff, s61                             // 000000007708: 863D3DFF FFFEFFFF
	v_cndmask_b32_e64 v59, v59, v178, s[60:61]                 // 000000007710: D100003B 00F3653B
	s_branch label_0DE7                                        // 000000007718: BF820020

000000000000771c <label_0DC7>:
	v_mov_b32_e32 v56, v178                                    // 00000000771C: 7E7003B2
	v_mov_b32_e32 v57, v178                                    // 000000007720: 7E7203B2
	v_mov_b32_e32 v58, v178                                    // 000000007724: 7E7403B2
	v_mov_b32_e32 v59, v178                                    // 000000007728: 7E7603B2
	s_branch label_0DE7                                        // 00000000772C: BF82001B

0000000000007730 <label_0DCC>:
	v_cndmask_b32_e64 v60, v60, v178, s[60:61]                 // 000000007730: D100003C 00F3653C
	s_lshl_b32 s60, s60, 1                                     // 000000007738: 8E3C813C
	s_lshl_b32 s61, s61, 1                                     // 00000000773C: 8E3D813D
	s_and_b32 s60, 0xfffeffff, s60                             // 000000007740: 863C3CFF FFFEFFFF
	s_and_b32 s61, 0xfffeffff, s61                             // 000000007748: 863D3DFF FFFEFFFF
	v_cndmask_b32_e64 v61, v61, v178, s[60:61]                 // 000000007750: D100003D 00F3653D
	s_lshl_b32 s60, s60, 1                                     // 000000007758: 8E3C813C
	s_lshl_b32 s61, s61, 1                                     // 00000000775C: 8E3D813D
	s_and_b32 s60, 0xfffeffff, s60                             // 000000007760: 863C3CFF FFFEFFFF
	s_and_b32 s61, 0xfffeffff, s61                             // 000000007768: 863D3DFF FFFEFFFF
	v_cndmask_b32_e64 v62, v62, v178, s[60:61]                 // 000000007770: D100003E 00F3653E
	s_lshl_b32 s60, s60, 1                                     // 000000007778: 8E3C813C
	s_lshl_b32 s61, s61, 1                                     // 00000000777C: 8E3D813D
	s_and_b32 s60, 0xfffeffff, s60                             // 000000007780: 863C3CFF FFFEFFFF
	s_and_b32 s61, 0xfffeffff, s61                             // 000000007788: 863D3DFF FFFEFFFF
	v_cndmask_b32_e64 v63, v63, v178, s[60:61]                 // 000000007790: D100003F 00F3653F
	s_branch label_0DEC                                        // 000000007798: BF820005

000000000000779c <label_0DE7>:
	v_mov_b32_e32 v60, v178                                    // 00000000779C: 7E7803B2
	v_mov_b32_e32 v61, v178                                    // 0000000077A0: 7E7A03B2
	v_mov_b32_e32 v62, v178                                    // 0000000077A4: 7E7C03B2
	v_mov_b32_e32 v63, v178                                    // 0000000077A8: 7E7E03B2
	s_branch label_0DEC                                        // 0000000077AC: BF820000

00000000000077b0 <label_0DEC>:
	s_addk_i32 s74, 0x1                                        // 0000000077B0: B74A0001
	s_add_u32 s62, 0, s47                                      // 0000000077B4: 803E2F80
	s_cmp_lt_i32 s74, s62                                      // 0000000077B8: BF043E4A
	s_cbranch_scc1 label_0E18                                  // 0000000077BC: BF850028
	s_cmp_eq_i32 s74, s62                                      // 0000000077C0: BF003E4A
	s_cbranch_scc1 label_0DFD                                  // 0000000077C4: BF85000B
	s_add_u32 s62, 4, s47                                      // 0000000077C8: 803E2F84
	s_cmp_lt_i32 s74, s62                                      // 0000000077CC: BF043E4A
	s_cbranch_scc1 label_0E38                                  // 0000000077D0: BF850043
	s_cmp_eq_i32 s74, s62                                      // 0000000077D4: BF003E4A
	s_cbranch_scc1 label_0E1D                                  // 0000000077D8: BF850026
	s_add_u32 s62, 8, s47                                      // 0000000077DC: 803E2F88
	s_cmp_lt_i32 s74, s62                                      // 0000000077E0: BF043E4A
	s_cbranch_scc1 label_0E58                                  // 0000000077E4: BF85005E
	s_cmp_eq_i32 s74, s62                                      // 0000000077E8: BF003E4A
	s_cbranch_scc1 label_0E3D                                  // 0000000077EC: BF850041
	s_branch label_0E5D                                        // 0000000077F0: BF820060

00000000000077f4 <label_0DFD>:
	v_cndmask_b32_e64 v64, v64, v178, s[60:61]                 // 0000000077F4: D1000040 00F36540
	s_lshl_b32 s60, s60, 1                                     // 0000000077FC: 8E3C813C
	s_lshl_b32 s61, s61, 1                                     // 000000007800: 8E3D813D
	s_and_b32 s60, 0xfffeffff, s60                             // 000000007804: 863C3CFF FFFEFFFF
	s_and_b32 s61, 0xfffeffff, s61                             // 00000000780C: 863D3DFF FFFEFFFF
	v_cndmask_b32_e64 v65, v65, v178, s[60:61]                 // 000000007814: D1000041 00F36541
	s_lshl_b32 s60, s60, 1                                     // 00000000781C: 8E3C813C
	s_lshl_b32 s61, s61, 1                                     // 000000007820: 8E3D813D
	s_and_b32 s60, 0xfffeffff, s60                             // 000000007824: 863C3CFF FFFEFFFF
	s_and_b32 s61, 0xfffeffff, s61                             // 00000000782C: 863D3DFF FFFEFFFF
	v_cndmask_b32_e64 v66, v66, v178, s[60:61]                 // 000000007834: D1000042 00F36542
	s_lshl_b32 s60, s60, 1                                     // 00000000783C: 8E3C813C
	s_lshl_b32 s61, s61, 1                                     // 000000007840: 8E3D813D
	s_and_b32 s60, 0xfffeffff, s60                             // 000000007844: 863C3CFF FFFEFFFF
	s_and_b32 s61, 0xfffeffff, s61                             // 00000000784C: 863D3DFF FFFEFFFF
	v_cndmask_b32_e64 v67, v67, v178, s[60:61]                 // 000000007854: D1000043 00F36543
	s_branch label_0E38                                        // 00000000785C: BF820020

0000000000007860 <label_0E18>:
	v_mov_b32_e32 v64, v178                                    // 000000007860: 7E8003B2
	v_mov_b32_e32 v65, v178                                    // 000000007864: 7E8203B2
	v_mov_b32_e32 v66, v178                                    // 000000007868: 7E8403B2
	v_mov_b32_e32 v67, v178                                    // 00000000786C: 7E8603B2
	s_branch label_0E38                                        // 000000007870: BF82001B

0000000000007874 <label_0E1D>:
	v_cndmask_b32_e64 v68, v68, v178, s[60:61]                 // 000000007874: D1000044 00F36544
	s_lshl_b32 s60, s60, 1                                     // 00000000787C: 8E3C813C
	s_lshl_b32 s61, s61, 1                                     // 000000007880: 8E3D813D
	s_and_b32 s60, 0xfffeffff, s60                             // 000000007884: 863C3CFF FFFEFFFF
	s_and_b32 s61, 0xfffeffff, s61                             // 00000000788C: 863D3DFF FFFEFFFF
	v_cndmask_b32_e64 v69, v69, v178, s[60:61]                 // 000000007894: D1000045 00F36545
	s_lshl_b32 s60, s60, 1                                     // 00000000789C: 8E3C813C
	s_lshl_b32 s61, s61, 1                                     // 0000000078A0: 8E3D813D
	s_and_b32 s60, 0xfffeffff, s60                             // 0000000078A4: 863C3CFF FFFEFFFF
	s_and_b32 s61, 0xfffeffff, s61                             // 0000000078AC: 863D3DFF FFFEFFFF
	v_cndmask_b32_e64 v70, v70, v178, s[60:61]                 // 0000000078B4: D1000046 00F36546
	s_lshl_b32 s60, s60, 1                                     // 0000000078BC: 8E3C813C
	s_lshl_b32 s61, s61, 1                                     // 0000000078C0: 8E3D813D
	s_and_b32 s60, 0xfffeffff, s60                             // 0000000078C4: 863C3CFF FFFEFFFF
	s_and_b32 s61, 0xfffeffff, s61                             // 0000000078CC: 863D3DFF FFFEFFFF
	v_cndmask_b32_e64 v71, v71, v178, s[60:61]                 // 0000000078D4: D1000047 00F36547
	s_branch label_0E58                                        // 0000000078DC: BF820020

00000000000078e0 <label_0E38>:
	v_mov_b32_e32 v68, v178                                    // 0000000078E0: 7E8803B2
	v_mov_b32_e32 v69, v178                                    // 0000000078E4: 7E8A03B2
	v_mov_b32_e32 v70, v178                                    // 0000000078E8: 7E8C03B2
	v_mov_b32_e32 v71, v178                                    // 0000000078EC: 7E8E03B2
	s_branch label_0E58                                        // 0000000078F0: BF82001B

00000000000078f4 <label_0E3D>:
	v_cndmask_b32_e64 v72, v72, v178, s[60:61]                 // 0000000078F4: D1000048 00F36548
	s_lshl_b32 s60, s60, 1                                     // 0000000078FC: 8E3C813C
	s_lshl_b32 s61, s61, 1                                     // 000000007900: 8E3D813D
	s_and_b32 s60, 0xfffeffff, s60                             // 000000007904: 863C3CFF FFFEFFFF
	s_and_b32 s61, 0xfffeffff, s61                             // 00000000790C: 863D3DFF FFFEFFFF
	v_cndmask_b32_e64 v73, v73, v178, s[60:61]                 // 000000007914: D1000049 00F36549
	s_lshl_b32 s60, s60, 1                                     // 00000000791C: 8E3C813C
	s_lshl_b32 s61, s61, 1                                     // 000000007920: 8E3D813D
	s_and_b32 s60, 0xfffeffff, s60                             // 000000007924: 863C3CFF FFFEFFFF
	s_and_b32 s61, 0xfffeffff, s61                             // 00000000792C: 863D3DFF FFFEFFFF
	v_cndmask_b32_e64 v74, v74, v178, s[60:61]                 // 000000007934: D100004A 00F3654A
	s_lshl_b32 s60, s60, 1                                     // 00000000793C: 8E3C813C
	s_lshl_b32 s61, s61, 1                                     // 000000007940: 8E3D813D
	s_and_b32 s60, 0xfffeffff, s60                             // 000000007944: 863C3CFF FFFEFFFF
	s_and_b32 s61, 0xfffeffff, s61                             // 00000000794C: 863D3DFF FFFEFFFF
	v_cndmask_b32_e64 v75, v75, v178, s[60:61]                 // 000000007954: D100004B 00F3654B
	s_branch label_0E5D                                        // 00000000795C: BF820005

0000000000007960 <label_0E58>:
	v_mov_b32_e32 v72, v178                                    // 000000007960: 7E9003B2
	v_mov_b32_e32 v73, v178                                    // 000000007964: 7E9203B2
	v_mov_b32_e32 v74, v178                                    // 000000007968: 7E9403B2
	v_mov_b32_e32 v75, v178                                    // 00000000796C: 7E9603B2
	s_branch label_0E5D                                        // 000000007970: BF820000

0000000000007974 <label_0E5D>:
	s_addk_i32 s74, 0x1                                        // 000000007974: B74A0001
	s_waitcnt lgkmcnt(8)                                       // 000000007978: BF8CC87F
	s_barrier                                                  // 00000000797C: BF8A0000
	v_mfma_f32_16x16x16_bf16 v[76:79], v[108:109], a[72:73], 0 // 000000007980: D3E1004C 1202916C
	v_fma_f32 v52, v52, s57, -v140                             // 000000007988: D1CB0034 86307334
	v_fma_f32 v53, v53, s57, -v141                             // 000000007990: D1CB0035 86347335
	v_fma_f32 v54, v54, s57, -v142                             // 000000007998: D1CB0036 86387336
	v_fma_f32 v55, v55, s57, -v143                             // 0000000079A0: D1CB0037 863C7337
	v_fma_f32 v56, v56, s57, -v140                             // 0000000079A8: D1CB0038 86307338
	v_fma_f32 v57, v57, s57, -v141                             // 0000000079B0: D1CB0039 86347339
	v_mfma_f32_16x16x16_bf16 v[76:79], v[110:111], a[74:75], v[76:79]// 0000000079B8: D3E1004C 1532956E
	ds_read_b128 a[96:99], v18 offset:4352                     // 0000000079C0: DBFE1100 60000012
	ds_read_b128 a[100:103], v18 offset:4864                   // 0000000079C8: DBFE1300 64000012
	v_mfma_f32_16x16x16_bf16 v[76:79], v[112:113], a[76:77], v[76:79]// 0000000079D0: D3E1004C 15329970
	v_fma_f32 v58, v58, s57, -v142                             // 0000000079D8: D1CB003A 8638733A
	v_fma_f32 v59, v59, s57, -v143                             // 0000000079E0: D1CB003B 863C733B
	v_fma_f32 v60, v60, s57, -v140                             // 0000000079E8: D1CB003C 8630733C
	v_fma_f32 v61, v61, s57, -v141                             // 0000000079F0: D1CB003D 8634733D
	v_fma_f32 v62, v62, s57, -v142                             // 0000000079F8: D1CB003E 8638733E
	v_fma_f32 v63, v63, s57, -v143                             // 000000007A00: D1CB003F 863C733F
	v_mfma_f32_16x16x16_bf16 v[76:79], v[114:115], a[78:79], v[76:79]// 000000007A08: D3E1004C 15329D72
	v_fma_f32 v64, v64, s57, -v144                             // 000000007A10: D1CB0040 86407340
	v_fma_f32 v65, v65, s57, -v145                             // 000000007A18: D1CB0041 86447341
	v_fma_f32 v66, v66, s57, -v146                             // 000000007A20: D1CB0042 86487342
	v_fma_f32 v67, v67, s57, -v147                             // 000000007A28: D1CB0043 864C7343
	v_fma_f32 v68, v68, s57, -v144                             // 000000007A30: D1CB0044 86407344
	v_fma_f32 v69, v69, s57, -v145                             // 000000007A38: D1CB0045 86447345
	v_mfma_f32_16x16x16_bf16 v[80:83], v[108:109], a[80:81], 0 // 000000007A40: D3E10050 1202A16C
	v_fma_f32 v70, v70, s57, -v146                             // 000000007A48: D1CB0046 86487346
	v_fma_f32 v71, v71, s57, -v147                             // 000000007A50: D1CB0047 864C7347
	v_fma_f32 v72, v72, s57, -v144                             // 000000007A58: D1CB0048 86407348
	v_fma_f32 v73, v73, s57, -v145                             // 000000007A60: D1CB0049 86447349
	v_fma_f32 v74, v74, s57, -v146                             // 000000007A68: D1CB004A 8648734A
	v_fma_f32 v75, v75, s57, -v147                             // 000000007A70: D1CB004B 864C734B
	v_mfma_f32_16x16x16_bf16 v[80:83], v[110:111], a[82:83], v[80:83]// 000000007A78: D3E10050 1542A56E
	ds_read_b128 a[104:107], v18 offset:6528                   // 000000007A80: DBFE1980 68000012
	ds_read_b128 a[108:111], v18 offset:7040                   // 000000007A88: DBFE1B80 6C000012
	v_mfma_f32_16x16x16_bf16 v[80:83], v[112:113], a[84:85], v[80:83]// 000000007A90: D3E10050 1542A970
	v_exp_f32_e32 v52, v52                                     // 000000007A98: 7E684134
	v_exp_f32_e32 v53, v53                                     // 000000007A9C: 7E6A4135
	v_mfma_f32_16x16x16_bf16 v[80:83], v[114:115], a[86:87], v[80:83]// 000000007AA0: D3E10050 1542AD72
	v_exp_f32_e32 v54, v54                                     // 000000007AA8: 7E6C4136
	v_exp_f32_e32 v55, v55                                     // 000000007AAC: 7E6E4137
	v_mfma_f32_16x16x16_bf16 v[84:87], v[108:109], a[88:89], 0 // 000000007AB0: D3E10054 1202B16C
	v_exp_f32_e32 v56, v56                                     // 000000007AB8: 7E704138
	v_exp_f32_e32 v57, v57                                     // 000000007ABC: 7E724139
	v_mfma_f32_16x16x16_bf16 v[84:87], v[110:111], a[90:91], v[84:87]// 000000007AC0: D3E10054 1552B56E
	ds_read_b32 v156, v25 offset:31232                         // 000000007AC8: D86C7A00 9C000019
	ds_read_b32 v157, v25 offset:31248                         // 000000007AD0: D86C7A10 9D000019
	v_mfma_f32_16x16x16_bf16 v[84:87], v[112:113], a[92:93], v[84:87]// 000000007AD8: D3E10054 1552B970
	v_exp_f32_e32 v58, v58                                     // 000000007AE0: 7E74413A
	v_exp_f32_e32 v59, v59                                     // 000000007AE4: 7E76413B
	v_mfma_f32_16x16x16_bf16 v[84:87], v[114:115], a[94:95], v[84:87]// 000000007AE8: D3E10054 1552BD72
	ds_read_b32 v158, v25 offset:31264                         // 000000007AF0: D86C7A20 9E000019
	ds_read_b32 v159, v25 offset:31280                         // 000000007AF8: D86C7A30 9F000019
	v_mfma_f32_16x16x16_bf16 v[88:91], v[116:117], a[72:73], 0 // 000000007B00: D3E10058 12029174
	v_exp_f32_e32 v60, v60                                     // 000000007B08: 7E78413C
	v_exp_f32_e32 v61, v61                                     // 000000007B0C: 7E7A413D
	v_mfma_f32_16x16x16_bf16 v[88:91], v[118:119], a[74:75], v[88:91]// 000000007B10: D3E10058 15629576
	v_exp_f32_e32 v62, v62                                     // 000000007B18: 7E7C413E
	v_exp_f32_e32 v63, v63                                     // 000000007B1C: 7E7E413F
	v_mfma_f32_16x16x16_bf16 v[88:91], v[120:121], a[76:77], v[88:91]// 000000007B20: D3E10058 15629978
	v_exp_f32_e32 v64, v64                                     // 000000007B28: 7E804140
	v_exp_f32_e32 v65, v65                                     // 000000007B2C: 7E824141
	v_mfma_f32_16x16x16_bf16 v[88:91], v[122:123], a[78:79], v[88:91]// 000000007B30: D3E10058 15629D7A
	v_exp_f32_e32 v66, v66                                     // 000000007B38: 7E844142
	v_exp_f32_e32 v67, v67                                     // 000000007B3C: 7E864143
	v_mfma_f32_16x16x16_bf16 v[92:95], v[116:117], a[80:81], 0 // 000000007B40: D3E1005C 1202A174
	v_exp_f32_e32 v68, v68                                     // 000000007B48: 7E884144
	v_exp_f32_e32 v69, v69                                     // 000000007B4C: 7E8A4145
	v_mfma_f32_16x16x16_bf16 v[92:95], v[118:119], a[82:83], v[92:95]// 000000007B50: D3E1005C 1572A576
	v_exp_f32_e32 v70, v70                                     // 000000007B58: 7E8C4146
	v_exp_f32_e32 v71, v71                                     // 000000007B5C: 7E8E4147
	v_mfma_f32_16x16x16_bf16 v[92:95], v[120:121], a[84:85], v[92:95]// 000000007B60: D3E1005C 1572A978
	v_exp_f32_e32 v72, v72                                     // 000000007B68: 7E904148
	v_exp_f32_e32 v73, v73                                     // 000000007B6C: 7E924149
	v_mfma_f32_16x16x16_bf16 v[92:95], v[122:123], a[86:87], v[92:95]// 000000007B70: D3E1005C 1572AD7A
	v_exp_f32_e32 v74, v74                                     // 000000007B78: 7E94414A
	v_exp_f32_e32 v75, v75                                     // 000000007B7C: 7E96414B
	v_mfma_f32_16x16x16_bf16 v[96:99], v[116:117], a[88:89], 0 // 000000007B80: D3E10060 1202B174
	v_perm_b32 v164, v53, v52, s64                             // 000000007B88: D1ED00A4 01026935
	v_perm_b32 v165, v55, v54, s64                             // 000000007B90: D1ED00A5 01026D37
	v_perm_b32 v166, v57, v56, s64                             // 000000007B98: D1ED00A6 01027139
	v_perm_b32 v167, v59, v58, s64                             // 000000007BA0: D1ED00A7 0102753B
	v_perm_b32 v168, v61, v60, s64                             // 000000007BA8: D1ED00A8 0102793D
	v_perm_b32 v169, v63, v62, s64                             // 000000007BB0: D1ED00A9 01027D3F
	v_mfma_f32_16x16x16_bf16 v[96:99], v[118:119], a[90:91], v[96:99]// 000000007BB8: D3E10060 1582B576
	v_perm_b32 v170, v65, v64, s64                             // 000000007BC0: D1ED00AA 01028141
	v_perm_b32 v171, v67, v66, s64                             // 000000007BC8: D1ED00AB 01028543
	v_perm_b32 v172, v69, v68, s64                             // 000000007BD0: D1ED00AC 01028945
	v_perm_b32 v173, v71, v70, s64                             // 000000007BD8: D1ED00AD 01028D47
	v_perm_b32 v174, v73, v72, s64                             // 000000007BE0: D1ED00AE 01029149
	v_perm_b32 v175, v75, v74, s64                             // 000000007BE8: D1ED00AF 0102954B
	v_mfma_f32_16x16x16_bf16 v[96:99], v[120:121], a[92:93], v[96:99]// 000000007BF0: D3E10060 1582B978
	s_add_u32 s32, s66, s32                                    // 000000007BF8: 80202042
	s_addc_u32 s33, 0, s33                                     // 000000007BFC: 82212180
	v_mfma_f32_16x16x16_bf16 v[96:99], v[122:123], a[94:95], v[96:99]// 000000007C00: D3E10060 1582BD7A
	s_waitcnt lgkmcnt(0)                                       // 000000007C08: BF8CC07F
	s_barrier                                                  // 000000007C0C: BF8A0000
	v_mfma_f32_16x16x16_bf16 v[180:183], v[124:125], v[164:165], v[180:183]// 000000007C10: D3E100B4 06D3497C
	v_subrev_f32_dpp v76, v176, v76 quad_perm:[0,0,0,0] row_mask:0xf bank_mask:0xf// 000000007C18: 069898FA FF0000B0
	v_subrev_f32_dpp v77, v176, v77 quad_perm:[1,1,1,1] row_mask:0xf bank_mask:0xf// 000000007C20: 069A9AFA FF0055B0
	v_subrev_f32_dpp v78, v176, v78 quad_perm:[2,2,2,2] row_mask:0xf bank_mask:0xf// 000000007C28: 069C9CFA FF00AAB0
	v_subrev_f32_dpp v79, v176, v79 quad_perm:[3,3,3,3] row_mask:0xf bank_mask:0xf// 000000007C30: 069E9EFA FF00FFB0
	v_subrev_f32_dpp v80, v176, v80 quad_perm:[0,0,0,0] row_mask:0xf bank_mask:0xf// 000000007C38: 06A0A0FA FF0000B0
	v_subrev_f32_dpp v81, v176, v81 quad_perm:[1,1,1,1] row_mask:0xf bank_mask:0xf// 000000007C40: 06A2A2FA FF0055B0
	v_mfma_f32_16x16x16_bf16 v[184:187], v[126:127], v[164:165], v[184:187]// 000000007C48: D3E100B8 06E3497E
	v_subrev_f32_dpp v82, v176, v82 quad_perm:[2,2,2,2] row_mask:0xf bank_mask:0xf// 000000007C50: 06A4A4FA FF00AAB0
	v_subrev_f32_dpp v83, v176, v83 quad_perm:[3,3,3,3] row_mask:0xf bank_mask:0xf// 000000007C58: 06A6A6FA FF00FFB0
	v_subrev_f32_dpp v84, v176, v84 quad_perm:[0,0,0,0] row_mask:0xf bank_mask:0xf// 000000007C60: 06A8A8FA FF0000B0
	v_subrev_f32_dpp v85, v176, v85 quad_perm:[1,1,1,1] row_mask:0xf bank_mask:0xf// 000000007C68: 06AAAAFA FF0055B0
	v_subrev_f32_dpp v86, v176, v86 quad_perm:[2,2,2,2] row_mask:0xf bank_mask:0xf// 000000007C70: 06ACACFA FF00AAB0
	v_subrev_f32_dpp v87, v176, v87 quad_perm:[3,3,3,3] row_mask:0xf bank_mask:0xf// 000000007C78: 06AEAEFA FF00FFB0
	v_mfma_f32_16x16x16_bf16 v[188:191], v[128:129], v[164:165], v[188:191]// 000000007C80: D3E100BC 06F34980
	v_mul_f32_e32 v76, v52, v76                                // 000000007C88: 0A989934
	v_mul_f32_e32 v77, v53, v77                                // 000000007C8C: 0A9A9B35
	v_mul_f32_e32 v78, v54, v78                                // 000000007C90: 0A9C9D36
	v_mul_f32_e32 v79, v55, v79                                // 000000007C94: 0A9E9F37
	v_mul_f32_e32 v80, v56, v80                                // 000000007C98: 0AA0A138
	v_mul_f32_e32 v81, v57, v81                                // 000000007C9C: 0AA2A339
	v_mfma_f32_16x16x16_bf16 v[192:195], v[130:131], v[164:165], v[192:195]// 000000007CA0: D3E100C0 07034982
	v_mul_f32_e32 v82, v58, v82                                // 000000007CA8: 0AA4A53A
	v_mul_f32_e32 v83, v59, v83                                // 000000007CAC: 0AA6A73B
	v_mul_f32_e32 v84, v60, v84                                // 000000007CB0: 0AA8A93C
	v_mul_f32_e32 v85, v61, v85                                // 000000007CB4: 0AAAAB3D
	v_mul_f32_e32 v86, v62, v86                                // 000000007CB8: 0AACAD3E
	v_mul_f32_e32 v87, v63, v87                                // 000000007CBC: 0AAEAF3F
	v_mfma_f32_16x16x16_bf16 v[196:199], v[124:125], v[166:167], v[196:199]// 000000007CC0: D3E100C4 07134D7C
	v_perm_b32 v76, v77, v76, s64                              // 000000007CC8: D1ED004C 0102994D
	v_perm_b32 v77, v79, v78, s64                              // 000000007CD0: D1ED004D 01029D4F
	v_perm_b32 v78, v81, v80, s64                              // 000000007CD8: D1ED004E 0102A151
	v_perm_b32 v79, v83, v82, s64                              // 000000007CE0: D1ED004F 0102A553
	v_perm_b32 v80, v85, v84, s64                              // 000000007CE8: D1ED0050 0102A955
	v_perm_b32 v81, v87, v86, s64                              // 000000007CF0: D1ED0051 0102AD57
	v_mfma_f32_16x16x16_bf16 v[200:203], v[126:127], v[166:167], v[200:203]// 000000007CF8: D3E100C8 07234D7E
	v_mov_b32_dpp v22, v76 quad_perm:[1,0,3,2] row_mask:0xf bank_mask:0xf// 000000007D00: 7E2C02FA FF00B14C
	v_perm_b32 v52, v22, v76, v21                              // 000000007D08: D1ED0034 04569916
	v_mov_b32_dpp v22, v77 quad_perm:[1,0,3,2] row_mask:0xf bank_mask:0xf// 000000007D10: 7E2C02FA FF00B14D
	v_perm_b32 v53, v22, v77, v21                              // 000000007D18: D1ED0035 04569B16
	v_mov_b32_dpp v22, v78 quad_perm:[1,0,3,2] row_mask:0xf bank_mask:0xf// 000000007D20: 7E2C02FA FF00B14E
	v_perm_b32 v54, v22, v78, v21                              // 000000007D28: D1ED0036 04569D16
	v_mfma_f32_16x16x16_bf16 v[204:207], v[128:129], v[166:167], v[204:207]// 000000007D30: D3E100CC 07334D80
	ds_write_b32 v24, v52 offset:17408                         // 000000007D38: D81A4400 00003418
	ds_write_b32 v24, v53 offset:17952                         // 000000007D40: D81A4620 00003518
	v_mfma_f32_16x16x16_bf16 v[208:211], v[130:131], v[166:167], v[208:211]// 000000007D48: D3E100D0 07434D82
	v_mov_b32_dpp v22, v79 quad_perm:[1,0,3,2] row_mask:0xf bank_mask:0xf// 000000007D50: 7E2C02FA FF00B14F
	v_perm_b32 v55, v22, v79, v21                              // 000000007D58: D1ED0037 04569F16
	v_mov_b32_dpp v22, v80 quad_perm:[1,0,3,2] row_mask:0xf bank_mask:0xf// 000000007D60: 7E2C02FA FF00B150
	v_perm_b32 v56, v22, v80, v21                              // 000000007D68: D1ED0038 0456A116
	v_mov_b32_dpp v22, v81 quad_perm:[1,0,3,2] row_mask:0xf bank_mask:0xf// 000000007D70: 7E2C02FA FF00B151
	v_perm_b32 v57, v22, v81, v21                              // 000000007D78: D1ED0039 0456A316
	v_mfma_f32_16x16x16_bf16 v[212:215], v[124:125], v[168:169], v[212:215]// 000000007D80: D3E100D4 0753517C
	ds_write_b32 v24, v54 offset:19712                         // 000000007D88: D81A4D00 00003618
	ds_write_b32 v24, v55 offset:20256                         // 000000007D90: D81A4F20 00003718
	v_mfma_f32_16x16x16_bf16 v[216:219], v[126:127], v[168:169], v[216:219]// 000000007D98: D3E100D8 0763517E
	v_subrev_f32_dpp v88, v177, v88 quad_perm:[0,0,0,0] row_mask:0xf bank_mask:0xf// 000000007DA0: 06B0B0FA FF0000B1
	v_subrev_f32_dpp v89, v177, v89 quad_perm:[1,1,1,1] row_mask:0xf bank_mask:0xf// 000000007DA8: 06B2B2FA FF0055B1
	v_subrev_f32_dpp v90, v177, v90 quad_perm:[2,2,2,2] row_mask:0xf bank_mask:0xf// 000000007DB0: 06B4B4FA FF00AAB1
	v_subrev_f32_dpp v91, v177, v91 quad_perm:[3,3,3,3] row_mask:0xf bank_mask:0xf// 000000007DB8: 06B6B6FA FF00FFB1
	v_subrev_f32_dpp v92, v177, v92 quad_perm:[0,0,0,0] row_mask:0xf bank_mask:0xf// 000000007DC0: 06B8B8FA FF0000B1
	v_subrev_f32_dpp v93, v177, v93 quad_perm:[1,1,1,1] row_mask:0xf bank_mask:0xf// 000000007DC8: 06BABAFA FF0055B1
	v_mfma_f32_16x16x16_bf16 v[220:223], v[128:129], v[168:169], v[220:223]// 000000007DD0: D3E100DC 07735180
	ds_write_b32 v24, v56 offset:22016                         // 000000007DD8: D81A5600 00003818
	ds_write_b32 v24, v57 offset:22560                         // 000000007DE0: D81A5820 00003918
	v_mfma_f32_16x16x16_bf16 v[224:227], v[130:131], v[168:169], v[224:227]// 000000007DE8: D3E100E0 07835182
	v_subrev_f32_dpp v94, v177, v94 quad_perm:[2,2,2,2] row_mask:0xf bank_mask:0xf// 000000007DF0: 06BCBCFA FF00AAB1
	v_subrev_f32_dpp v95, v177, v95 quad_perm:[3,3,3,3] row_mask:0xf bank_mask:0xf// 000000007DF8: 06BEBEFA FF00FFB1
	v_subrev_f32_dpp v96, v177, v96 quad_perm:[0,0,0,0] row_mask:0xf bank_mask:0xf// 000000007E00: 06C0C0FA FF0000B1
	v_subrev_f32_dpp v97, v177, v97 quad_perm:[1,1,1,1] row_mask:0xf bank_mask:0xf// 000000007E08: 06C2C2FA FF0055B1
	v_subrev_f32_dpp v98, v177, v98 quad_perm:[2,2,2,2] row_mask:0xf bank_mask:0xf// 000000007E10: 06C4C4FA FF00AAB1
	v_subrev_f32_dpp v99, v177, v99 quad_perm:[3,3,3,3] row_mask:0xf bank_mask:0xf// 000000007E18: 06C6C6FA FF00FFB1
	v_mfma_f32_16x16x16_bf16 v[180:183], v[132:133], v[170:171], v[180:183]// 000000007E20: D3E100B4 06D35584
	v_mul_f32_e32 v88, v64, v88                                // 000000007E28: 0AB0B140
	v_mul_f32_e32 v89, v65, v89                                // 000000007E2C: 0AB2B341
	v_mul_f32_e32 v90, v66, v90                                // 000000007E30: 0AB4B542
	v_mul_f32_e32 v91, v67, v91                                // 000000007E34: 0AB6B743
	v_mul_f32_e32 v92, v68, v92                                // 000000007E38: 0AB8B944
	v_mul_f32_e32 v93, v69, v93                                // 000000007E3C: 0ABABB45
	v_mfma_f32_16x16x16_bf16 v[184:187], v[134:135], v[170:171], v[184:187]// 000000007E40: D3E100B8 06E35586
	v_mul_f32_e32 v94, v70, v94                                // 000000007E48: 0ABCBD46
	v_mul_f32_e32 v95, v71, v95                                // 000000007E4C: 0ABEBF47
	v_mul_f32_e32 v96, v72, v96                                // 000000007E50: 0AC0C148
	v_mul_f32_e32 v97, v73, v97                                // 000000007E54: 0AC2C349
	v_mul_f32_e32 v98, v74, v98                                // 000000007E58: 0AC4C54A
	v_mul_f32_e32 v99, v75, v99                                // 000000007E5C: 0AC6C74B
	v_mfma_f32_16x16x16_bf16 v[188:191], v[136:137], v[170:171], v[188:191]// 000000007E60: D3E100BC 06F35588
	v_perm_b32 v82, v89, v88, s64                              // 000000007E68: D1ED0052 0102B159
	v_perm_b32 v83, v91, v90, s64                              // 000000007E70: D1ED0053 0102B55B
	v_perm_b32 v84, v93, v92, s64                              // 000000007E78: D1ED0054 0102B95D
	v_perm_b32 v85, v95, v94, s64                              // 000000007E80: D1ED0055 0102BD5F
	v_perm_b32 v86, v97, v96, s64                              // 000000007E88: D1ED0056 0102C161
	v_perm_b32 v87, v99, v98, s64                              // 000000007E90: D1ED0057 0102C563
	v_mfma_f32_16x16x16_bf16 v[192:195], v[138:139], v[170:171], v[192:195]// 000000007E98: D3E100C0 0703558A
	v_mov_b32_dpp v22, v82 quad_perm:[1,0,3,2] row_mask:0xf bank_mask:0xf// 000000007EA0: 7E2C02FA FF00B152
	v_perm_b32 v58, v22, v82, v21                              // 000000007EA8: D1ED003A 0456A516
	v_mov_b32_dpp v22, v83 quad_perm:[1,0,3,2] row_mask:0xf bank_mask:0xf// 000000007EB0: 7E2C02FA FF00B153
	v_perm_b32 v59, v22, v83, v21                              // 000000007EB8: D1ED003B 0456A716
	v_mov_b32_dpp v22, v84 quad_perm:[1,0,3,2] row_mask:0xf bank_mask:0xf// 000000007EC0: 7E2C02FA FF00B154
	v_perm_b32 v60, v22, v84, v21                              // 000000007EC8: D1ED003C 0456A916
	v_mfma_f32_16x16x16_bf16 v[196:199], v[132:133], v[172:173], v[196:199]// 000000007ED0: D3E100C4 07135984
	ds_write_b32 v24, v58 offset:24320                         // 000000007ED8: D81A5F00 00003A18
	ds_write_b32 v24, v59 offset:24864                         // 000000007EE0: D81A6120 00003B18
	v_mfma_f32_16x16x16_bf16 v[200:203], v[134:135], v[172:173], v[200:203]// 000000007EE8: D3E100C8 07235986
	v_mov_b32_dpp v22, v85 quad_perm:[1,0,3,2] row_mask:0xf bank_mask:0xf// 000000007EF0: 7E2C02FA FF00B155
	v_perm_b32 v61, v22, v85, v21                              // 000000007EF8: D1ED003D 0456AB16
	v_mov_b32_dpp v22, v86 quad_perm:[1,0,3,2] row_mask:0xf bank_mask:0xf// 000000007F00: 7E2C02FA FF00B156
	v_perm_b32 v62, v22, v86, v21                              // 000000007F08: D1ED003E 0456AD16
	v_mov_b32_dpp v22, v87 quad_perm:[1,0,3,2] row_mask:0xf bank_mask:0xf// 000000007F10: 7E2C02FA FF00B157
	v_perm_b32 v63, v22, v87, v21                              // 000000007F18: D1ED003F 0456AF16
	v_mfma_f32_16x16x16_bf16 v[204:207], v[136:137], v[172:173], v[204:207]// 000000007F20: D3E100CC 07335988
	ds_write_b32 v24, v60 offset:26624                         // 000000007F28: D81A6800 00003C18
	ds_write_b32 v24, v61 offset:27168                         // 000000007F30: D81A6A20 00003D18
	ds_write_b32 v24, v62 offset:28928                         // 000000007F38: D81A7100 00003E18
	ds_write_b32 v24, v63 offset:29472                         // 000000007F40: D81A7320 00003F18
	v_mfma_f32_16x16x16_bf16 v[208:211], v[138:139], v[172:173], v[208:211]// 000000007F48: D3E100D0 0743598A
	v_mfma_f32_16x16x16_bf16 v[212:215], v[132:133], v[174:175], v[212:215]// 000000007F50: D3E100D4 07535D84
	ds_write_b32 v19, v100 offset:4352                         // 000000007F58: D81A1100 00006413
	ds_write_b32 v19, v101 offset:5408                         // 000000007F60: D81A1520 00006513
	v_mfma_f32_16x16x16_bf16 v[216:219], v[134:135], v[174:175], v[216:219]// 000000007F68: D3E100D8 07635D86
	v_mfma_f32_16x16x16_bf16 v[220:223], v[136:137], v[174:175], v[220:223]// 000000007F70: D3E100DC 07735D88
	ds_write_b32 v19, v102 offset:6528                         // 000000007F78: D81A1980 00006613
	ds_write_b32 v19, v103 offset:7584                         // 000000007F80: D81A1DA0 00006713
	v_mfma_f32_16x16x16_bf16 v[224:227], v[138:139], v[174:175], v[224:227]// 000000007F88: D3E100E0 07835D8A
	s_nop 0                                                    // 000000007F90: BF800000
	s_nop 0                                                    // 000000007F94: BF800000
	s_nop 0                                                    // 000000007F98: BF800000
	s_barrier                                                  // 000000007F9C: BF8A0000
	v_mfma_f32_16x16x16_bf16 a[112:115], a[96:97], v[76:77], a[112:115]// 000000007FA0: D3E18070 0DC29960
	ds_read_b32 v140, v27 offset:36096                         // 000000007FA8: D86C8D00 8C00001B
	ds_read_b32 v144, v27 offset:36160                         // 000000007FB0: D86C8D40 9000001B
	ds_read_b32 v176, v27 offset:36352                         // 000000007FB8: D86C8E00 B000001B
	ds_read_b32 v177, v27 offset:36416                         // 000000007FC0: D86C8E40 B100001B
	v_mfma_f32_16x16x16_bf16 a[116:119], a[98:99], v[76:77], a[116:119]// 000000007FC8: D3E18074 0DD29962
	global_atomic_pk_add_bf16 v6, v156, s[32:33]               // 000000007FD0: DD488000 00209C06
	v_mfma_f32_16x16x16_bf16 a[120:123], a[100:101], v[76:77], a[120:123]// 000000007FD8: D3E18078 0DE29964
	s_waitcnt lgkmcnt(8)                                       // 000000007FE0: BF8CC87F
	s_barrier                                                  // 000000007FE4: BF8A0000
	v_mfma_f32_16x16x16_bf16 a[124:127], a[102:103], v[76:77], a[124:127]// 000000007FE8: D3E1807C 0DF29966
	v_mfma_f32_16x16x16_bf16 a[128:131], a[96:97], v[78:79], a[128:131]// 000000007FF0: D3E18080 0E029D60
	ds_read_b128 v[52:55], v23 offset:17408                    // 000000007FF8: D9FE4400 34000017
	v_mfma_f32_16x16x16_bf16 a[132:135], a[98:99], v[78:79], a[132:135]// 000000008000: D3E18084 0E129D62
	v_mfma_f32_16x16x16_bf16 a[136:139], a[100:101], v[78:79], a[136:139]// 000000008008: D3E18088 0E229D64
	ds_read_b128 v[56:59], v23 offset:18560                    // 000000008010: D9FE4880 38000017
	v_mfma_f32_16x16x16_bf16 a[140:143], a[102:103], v[78:79], a[140:143]// 000000008018: D3E1808C 0E329D66
	global_atomic_pk_add_bf16 v8, v157, s[32:33]               // 000000008020: DD488000 00209D08
	v_mfma_f32_16x16x16_bf16 a[144:147], a[96:97], v[80:81], a[144:147]// 000000008028: D3E18090 0E42A160
	ds_read_b128 v[60:63], v23 offset:19712                    // 000000008030: D9FE4D00 3C000017
	v_mfma_f32_16x16x16_bf16 a[148:151], a[98:99], v[80:81], a[148:151]// 000000008038: D3E18094 0E52A162
	v_mfma_f32_16x16x16_bf16 a[152:155], a[100:101], v[80:81], a[152:155]// 000000008040: D3E18098 0E62A164
	ds_read_b128 v[64:67], v23 offset:20864                    // 000000008048: D9FE5180 40000017
	v_mfma_f32_16x16x16_bf16 a[156:159], a[102:103], v[80:81], a[156:159]// 000000008050: D3E1809C 0E72A166
	v_mfma_f32_16x16x16_bf16 a[112:115], a[104:105], v[82:83], a[112:115]// 000000008058: D3E18070 0DC2A568
	ds_read_b128 v[68:71], v23 offset:22016                    // 000000008060: D9FE5600 44000017
	v_mfma_f32_16x16x16_bf16 a[116:119], a[106:107], v[82:83], a[116:119]// 000000008068: D3E18074 0DD2A56A
	global_atomic_pk_add_bf16 v10, v158, s[32:33]              // 000000008070: DD488000 00209E0A
	v_mfma_f32_16x16x16_bf16 a[120:123], a[108:109], v[82:83], a[120:123]// 000000008078: D3E18078 0DE2A56C
	ds_read_b128 v[72:75], v23 offset:23168                    // 000000008080: D9FE5A80 48000017
	v_mfma_f32_16x16x16_bf16 a[124:127], a[110:111], v[82:83], a[124:127]// 000000008088: D3E1807C 0DF2A56E
	v_mfma_f32_16x16x16_bf16 a[128:131], a[104:105], v[84:85], a[128:131]// 000000008090: D3E18080 0E02A968
	ds_write_b32 v19, v104 offset:13056                        // 000000008098: D81A3300 00006813
	v_mfma_f32_16x16x16_bf16 a[132:135], a[106:107], v[84:85], a[132:135]// 0000000080A0: D3E18084 0E12A96A
	v_mfma_f32_16x16x16_bf16 a[136:139], a[108:109], v[84:85], a[136:139]// 0000000080A8: D3E18088 0E22A96C
	ds_write_b32 v19, v105 offset:14112                        // 0000000080B0: D81A3720 00006913
	v_mfma_f32_16x16x16_bf16 a[140:143], a[110:111], v[84:85], a[140:143]// 0000000080B8: D3E1808C 0E32A96E
	global_atomic_pk_add_bf16 v12, v159, s[32:33]              // 0000000080C0: DD488000 00209F0C
	v_mfma_f32_16x16x16_bf16 a[144:147], a[104:105], v[86:87], a[144:147]// 0000000080C8: D3E18090 0E42AD68
	ds_write_b32 v19, v106 offset:15232                        // 0000000080D0: D81A3B80 00006A13
	v_mfma_f32_16x16x16_bf16 a[148:151], a[106:107], v[86:87], a[148:151]// 0000000080D8: D3E18094 0E52AD6A
	v_mfma_f32_16x16x16_bf16 a[152:155], a[108:109], v[86:87], a[152:155]// 0000000080E0: D3E18098 0E62AD6C
	ds_write_b32 v19, v107 offset:16288                        // 0000000080E8: D81A3FA0 00006B13
	v_mfma_f32_16x16x16_bf16 a[156:159], a[110:111], v[86:87], a[156:159]// 0000000080F0: D3E1809C 0E72AD6E
	s_waitcnt vmcnt(4) lgkmcnt(4)                              // 0000000080F8: BF8C0474
	s_barrier                                                  // 0000000080FC: BF8A0000
	v_mfma_f32_16x16x16_bf16 v[148:151], a[24:25], v[52:53], 0 // 000000008100: D3E10094 0A026918
	ds_read_b128 a[96:99], v16                                 // 000000008108: DBFE0000 60000010
	buffer_load_dword v40, v1, s[8:11], 0 idxen                // 000000008110: E0502000 80022801
	v_mfma_f32_16x16x16_bf16 v[148:151], a[28:29], v[54:55], v[148:151]// 000000008118: D3E10094 0E526D1C
	v_mul_f32_e32 v140, s49, v140                              // 000000008120: 0B191831
	v_mul_f32_e32 v144, s49, v144                              // 000000008124: 0B212031
	s_nop 0                                                    // 000000008128: BF800000
	v_mfma_f32_16x16x16_bf16 v[148:151], a[32:33], v[56:57], v[148:151]// 00000000812C: D3E10094 0E527120
	ds_read_b128 a[100:103], v16 offset:512                    // 000000008134: DBFE0200 64000010
	buffer_load_dword v41, v2, s[8:11], 0 idxen                // 00000000813C: E0502000 80022902
	v_mfma_f32_16x16x16_bf16 v[148:151], a[36:37], v[58:59], v[148:151]// 000000008144: D3E10094 0E527524
	v_mfma_f32_16x16x16_bf16 v[148:151], a[40:41], v[60:61], v[148:151]// 00000000814C: D3E10094 0E527928
	ds_read_b128 a[104:107], v16 offset:2176                   // 000000008154: DBFE0880 68000010
	buffer_load_dword v42, v3, s[8:11], 0 idxen                // 00000000815C: E0502000 80022A03
	v_mfma_f32_16x16x16_bf16 v[148:151], a[44:45], v[62:63], v[148:151]// 000000008164: D3E10094 0E527D2C
	v_perm_b32 v100, v37, v36, s63                             // 00000000816C: D1ED0064 00FE4925
	v_perm_b32 v101, v37, v36, s64                             // 000000008174: D1ED0065 01024925
	v_mfma_f32_16x16x16_bf16 v[148:151], a[48:49], v[64:65], v[148:151]// 00000000817C: D3E10094 0E528130
	ds_read_b128 a[108:111], v16 offset:2688                   // 000000008184: DBFE0A80 6C000010
	buffer_load_dword v43, v4, s[8:11], 0 idxen                // 00000000818C: E0502000 80022B04
	v_mfma_f32_16x16x16_bf16 v[148:151], a[52:53], v[66:67], v[148:151]// 000000008194: D3E10094 0E528534
	v_perm_b32 v102, v39, v38, s63                             // 00000000819C: D1ED0066 00FE4D27
	v_perm_b32 v103, v39, v38, s64                             // 0000000081A4: D1ED0067 01024D27
	v_mfma_f32_16x16x16_bf16 v[148:151], a[56:57], v[68:69], v[148:151]// 0000000081AC: D3E10094 0E528938
	ds_read_b128 v[108:111], v16 offset:8704                   // 0000000081B4: D9FE2200 6C000010
	buffer_load_dword v48, v1, s[20:23], 0 idxen               // 0000000081BC: E0502000 80053001
	v_mfma_f32_16x16x16_bf16 v[148:151], a[60:61], v[70:71], v[148:151]// 0000000081C4: D3E10094 0E528D3C
	v_perm_b32 v104, v45, v44, s63                             // 0000000081CC: D1ED0068 00FE592D
	v_perm_b32 v105, v45, v44, s64                             // 0000000081D4: D1ED0069 0102592D
	v_mfma_f32_16x16x16_bf16 v[148:151], a[64:65], v[72:73], v[148:151]// 0000000081DC: D3E10094 0E529140
	ds_read_b128 v[112:115], v16 offset:9216                   // 0000000081E4: D9FE2400 70000010
	buffer_load_dword v49, v2, s[20:23], 0 idxen               // 0000000081EC: E0502000 80053102
	v_mfma_f32_16x16x16_bf16 v[148:151], a[68:69], v[74:75], v[148:151]// 0000000081F4: D3E10094 0E529544
	v_perm_b32 v106, v47, v46, s63                             // 0000000081FC: D1ED006A 00FE5D2F
	v_perm_b32 v107, v47, v46, s64                             // 000000008204: D1ED006B 01025D2F
	v_mfma_f32_16x16x16_bf16 v[152:155], a[26:27], v[52:53], 0 // 00000000820C: D3E10098 0A02691A
	ds_read_b128 v[116:119], v16 offset:10880                  // 000000008214: D9FE2A80 74000010
	buffer_load_dword v50, v3, s[20:23], 0 idxen               // 00000000821C: E0502000 80053203
	v_mfma_f32_16x16x16_bf16 v[152:155], a[30:31], v[54:55], v[152:155]// 000000008224: D3E10098 0E626D1E
	v_mov_b32_dpp v143, v140 quad_perm:[3,3,3,3] row_mask:0xf bank_mask:0xf// 00000000822C: 7F1E02FA FF00FF8C
	v_mov_b32_dpp v142, v140 quad_perm:[2,2,2,2] row_mask:0xf bank_mask:0xf// 000000008234: 7F1C02FA FF00AA8C
	v_mov_b32_dpp v141, v140 quad_perm:[1,1,1,1] row_mask:0xf bank_mask:0xf// 00000000823C: 7F1A02FA FF00558C
	v_mov_b32_dpp v140, v140 quad_perm:[0,0,0,0] row_mask:0xf bank_mask:0xf// 000000008244: 7F1802FA FF00008C
	v_mfma_f32_16x16x16_bf16 v[152:155], a[34:35], v[56:57], v[152:155]// 00000000824C: D3E10098 0E627122
	ds_read_b128 v[120:123], v16 offset:11392                  // 000000008254: D9FE2C80 78000010
	buffer_load_dword v51, v4, s[20:23], 0 idxen               // 00000000825C: E0502000 80053304
	v_mfma_f32_16x16x16_bf16 v[152:155], a[38:39], v[58:59], v[152:155]// 000000008264: D3E10098 0E627526
	v_mov_b32_dpp v147, v144 quad_perm:[3,3,3,3] row_mask:0xf bank_mask:0xf// 00000000826C: 7F2602FA FF00FF90
	v_mov_b32_dpp v146, v144 quad_perm:[2,2,2,2] row_mask:0xf bank_mask:0xf// 000000008274: 7F2402FA FF00AA90
	v_mov_b32_dpp v145, v144 quad_perm:[1,1,1,1] row_mask:0xf bank_mask:0xf// 00000000827C: 7F2202FA FF005590
	v_mov_b32_dpp v144, v144 quad_perm:[0,0,0,0] row_mask:0xf bank_mask:0xf// 000000008284: 7F2002FA FF000090
	s_add_u32 s60, 0x80, s59                                   // 00000000828C: 803C3BFF 00000080
	v_mfma_f32_16x16x16_bf16 v[152:155], a[42:43], v[60:61], v[152:155]// 000000008294: D3E10098 0E62792A
	buffer_load_dword v15, s[24:27], 0 idxen lds               // 00000000829C: E0512000 8006000F
	v_mfma_f32_16x16x16_bf16 v[152:155], a[46:47], v[62:63], v[152:155]// 0000000082A4: D3E10098 0E627D2E
	s_cmp_lt_u32 s60, s58                                      // 0000000082AC: BF0A3A3C
	s_cselect_b32 s68, s68, 0                                  // 0000000082B0: 85448044
	s_cselect_b32 s69, s69, 0                                  // 0000000082B4: 85458045
	v_mfma_f32_16x16x16_bf16 v[152:155], a[50:51], v[64:65], v[152:155]// 0000000082B8: D3E10098 0E628132
	s_add_u32 s8, s68, s8                                      // 0000000082C0: 80080844
	s_addc_u32 s9, 0, s9                                       // 0000000082C4: 82090980
	v_mfma_f32_16x16x16_bf16 v[152:155], a[54:55], v[66:67], v[152:155]// 0000000082C8: D3E10098 0E628536
	s_add_u32 s20, s68, s20                                    // 0000000082D0: 80141444
	s_addc_u32 s21, 0, s21                                     // 0000000082D4: 82151580
	v_mfma_f32_16x16x16_bf16 v[152:155], a[58:59], v[68:69], v[152:155]// 0000000082D8: D3E10098 0E62893A
	s_mov_b32 m0, s80                                          // 0000000082E0: BEFC0050
	v_add_u32_e32 v15, s69, v15                                // 0000000082E4: 681E1E45
	v_mfma_f32_16x16x16_bf16 v[152:155], a[62:63], v[70:71], v[152:155]// 0000000082E8: D3E10098 0E628D3E
	s_cmp_ge_u32 s59, s73                                      // 0000000082F0: BF09493B
	s_cselect_b32 s66, s67, s66                                // 0000000082F4: 85424243
	v_mfma_f32_16x16x16_bf16 v[152:155], a[66:67], v[72:73], v[152:155]// 0000000082F8: D3E10098 0E629142
	s_addk_i32 s59, 0x20                                       // 000000008300: B73B0020
	s_nop 0                                                    // 000000008304: BF800000
	s_cmp_lt_i32 s59, s58                                      // 000000008308: BF043A3B
	v_mfma_f32_16x16x16_bf16 v[152:155], a[70:71], v[74:75], v[152:155]// 00000000830C: D3E10098 0E629546
	s_cbranch_scc0 label_0D14                                  // 000000008314: BF84FC4E
	s_waitcnt lgkmcnt(4)                                       // 000000008318: BF8CC47F
	s_barrier                                                  // 00000000831C: BF8A0000
	v_mfma_f32_16x16x16_bf16 v[52:55], a[96:97], a[0:1], 0     // 000000008320: D3E10034 1A020160
	v_mul_f32_e32 v148, s48, v148                              // 000000008328: 0B292830
	v_mul_f32_e32 v149, s48, v149                              // 00000000832C: 0B2B2A30
	v_mfma_f32_16x16x16_bf16 v[52:55], a[98:99], a[2:3], v[52:55]// 000000008330: D3E10034 1CD20562
	ds_write_b32 v17, v44 offset:8704                          // 000000008338: D81A2200 00002C11
	ds_write_b32 v17, v45 offset:9760                          // 000000008340: D81A2620 00002D11
	v_mfma_f32_16x16x16_bf16 v[52:55], a[100:101], a[4:5], v[52:55]// 000000008348: D3E10034 1CD20964
	v_mul_f32_e32 v150, s48, v150                              // 000000008350: 0B2D2C30
	v_mul_f32_e32 v151, s48, v151                              // 000000008354: 0B2F2E30
	v_mfma_f32_16x16x16_bf16 v[52:55], a[102:103], a[6:7], v[52:55]// 000000008358: D3E10034 1CD20D66
	ds_write_b32 v17, v46 offset:10880                         // 000000008360: D81A2A80 00002E11
	ds_write_b32 v17, v47 offset:11936                         // 000000008368: D81A2EA0 00002F11
	v_mfma_f32_16x16x16_bf16 v[56:59], a[96:97], a[8:9], 0     // 000000008370: D3E10038 1A021160
	v_mul_f32_e32 v152, s48, v152                              // 000000008378: 0B313030
	v_mul_f32_e32 v153, s48, v153                              // 00000000837C: 0B333230
	v_mfma_f32_16x16x16_bf16 v[56:59], a[98:99], a[10:11], v[56:59]// 000000008380: D3E10038 1CE21562
	v_mul_f32_e32 v154, s48, v154                              // 000000008388: 0B353430
	v_mul_f32_e32 v155, s48, v155                              // 00000000838C: 0B373630
	v_mfma_f32_16x16x16_bf16 v[56:59], a[100:101], a[12:13], v[56:59]// 000000008390: D3E10038 1CE21964
	v_perm_b32 v148, v149, v148, s64                           // 000000008398: D1ED0094 01032995
	v_perm_b32 v149, v151, v150, s64                           // 0000000083A0: D1ED0095 01032D97
	v_mfma_f32_16x16x16_bf16 v[56:59], a[102:103], a[14:15], v[56:59]// 0000000083A8: D3E10038 1CE21D66
	v_perm_b32 v150, v153, v152, s64                           // 0000000083B0: D1ED0096 01033199
	v_perm_b32 v151, v155, v154, s64                           // 0000000083B8: D1ED0097 0103359B
	v_mfma_f32_16x16x16_bf16 v[60:63], a[96:97], a[16:17], 0   // 0000000083C0: D3E1003C 1A022160
	v_mfma_f32_16x16x16_bf16 v[60:63], a[98:99], a[18:19], v[60:63]// 0000000083C8: D3E1003C 1CF22562
	ds_write_b64 v26, v[148:149] offset:31232                  // 0000000083D0: D89A7A00 0000941A
	v_mfma_f32_16x16x16_bf16 v[60:63], a[100:101], a[20:21], v[60:63]// 0000000083D8: D3E1003C 1CF22964
	v_mfma_f32_16x16x16_bf16 v[60:63], a[102:103], a[22:23], v[60:63]// 0000000083E0: D3E1003C 1CF22D66
	ds_write_b64 v26, v[150:151] offset:31776                  // 0000000083E8: D89A7C20 0000961A
	v_mfma_f32_16x16x16_bf16 v[64:67], a[104:105], a[0:1], 0   // 0000000083F0: D3E10040 1A020168
	v_mfma_f32_16x16x16_bf16 v[64:67], a[106:107], a[2:3], v[64:67]// 0000000083F8: D3E10040 1D02056A
	ds_read_b128 v[124:127], v18 offset:13056                  // 000000008400: D9FE3300 7C000012
	ds_write_b32 v17, v36                                      // 000000008408: D81A0000 00002411
	v_mfma_f32_16x16x16_bf16 v[64:67], a[108:109], a[4:5], v[64:67]// 000000008410: D3E10040 1D02096C
	v_mfma_f32_16x16x16_bf16 v[64:67], a[110:111], a[6:7], v[64:67]// 000000008418: D3E10040 1D020D6E
	v_mfma_f32_16x16x16_bf16 v[68:71], a[104:105], a[8:9], 0   // 000000008420: D3E10044 1A021168
	ds_read_b128 v[128:131], v18 offset:13568                  // 000000008428: D9FE3500 80000012
	ds_write_b32 v17, v37 offset:1056                          // 000000008430: D81A0420 00002511
	v_mfma_f32_16x16x16_bf16 v[68:71], a[106:107], a[10:11], v[68:71]// 000000008438: D3E10044 1D12156A
	v_mfma_f32_16x16x16_bf16 v[68:71], a[108:109], a[12:13], v[68:71]// 000000008440: D3E10044 1D12196C
	v_mfma_f32_16x16x16_bf16 v[68:71], a[110:111], a[14:15], v[68:71]// 000000008448: D3E10044 1D121D6E
	ds_read_b128 v[132:135], v18 offset:15232                  // 000000008450: D9FE3B80 84000012
	ds_write_b32 v17, v38 offset:2176                          // 000000008458: D81A0880 00002611
	v_mfma_f32_16x16x16_bf16 v[72:75], a[104:105], a[16:17], 0 // 000000008460: D3E10048 1A022168
	v_mfma_f32_16x16x16_bf16 v[72:75], a[106:107], a[18:19], v[72:75]// 000000008468: D3E10048 1D22256A
	v_mfma_f32_16x16x16_bf16 v[72:75], a[108:109], a[20:21], v[72:75]// 000000008470: D3E10048 1D22296C
	ds_read_b128 v[136:139], v18 offset:15744                  // 000000008478: D9FE3D80 88000012
	ds_write_b32 v17, v39 offset:3232                          // 000000008480: D81A0CA0 00002711
	v_mfma_f32_16x16x16_bf16 v[72:75], a[110:111], a[22:23], v[72:75]// 000000008488: D3E10048 1D222D6E
	s_cmp_lt_i32 s74, 12                                       // 000000008490: BF048C4A
	s_cbranch_scc0 label_120C                                  // 000000008494: BF8400E6
	s_mov_b32 s60, 0xffe0fffe                                  // 000000008498: BEBC00FF FFE0FFFE
	s_mov_b32 s61, 0xe000fe00                                  // 0000000084A0: BEBD00FF E000FE00
	s_nop 0                                                    // 0000000084A8: BF800000
	s_add_u32 s62, 0, s47                                      // 0000000084AC: 803E2F80
	s_cmp_lt_i32 s74, s62                                      // 0000000084B0: BF043E4A
	s_cbranch_scc1 label_1156                                  // 0000000084B4: BF850028
	s_cmp_eq_i32 s74, s62                                      // 0000000084B8: BF003E4A
	s_cbranch_scc1 label_113B                                  // 0000000084BC: BF85000B
	s_add_u32 s62, 4, s47                                      // 0000000084C0: 803E2F84
	s_cmp_lt_i32 s74, s62                                      // 0000000084C4: BF043E4A
	s_cbranch_scc1 label_1176                                  // 0000000084C8: BF850043
	s_cmp_eq_i32 s74, s62                                      // 0000000084CC: BF003E4A
	s_cbranch_scc1 label_115B                                  // 0000000084D0: BF850026
	s_add_u32 s62, 8, s47                                      // 0000000084D4: 803E2F88
	s_cmp_lt_i32 s74, s62                                      // 0000000084D8: BF043E4A
	s_cbranch_scc1 label_1196                                  // 0000000084DC: BF85005E
	s_cmp_eq_i32 s74, s62                                      // 0000000084E0: BF003E4A
	s_cbranch_scc1 label_117B                                  // 0000000084E4: BF850041
	s_branch label_119B                                        // 0000000084E8: BF820060

00000000000084ec <label_113B>:
	v_cndmask_b32_e64 v52, v52, v178, s[60:61]                 // 0000000084EC: D1000034 00F36534
	s_lshl_b32 s60, s60, 1                                     // 0000000084F4: 8E3C813C
	s_lshl_b32 s61, s61, 1                                     // 0000000084F8: 8E3D813D
	s_and_b32 s60, 0xfffeffff, s60                             // 0000000084FC: 863C3CFF FFFEFFFF
	s_and_b32 s61, 0xfffeffff, s61                             // 000000008504: 863D3DFF FFFEFFFF
	v_cndmask_b32_e64 v53, v53, v178, s[60:61]                 // 00000000850C: D1000035 00F36535
	s_lshl_b32 s60, s60, 1                                     // 000000008514: 8E3C813C
	s_lshl_b32 s61, s61, 1                                     // 000000008518: 8E3D813D
	s_and_b32 s60, 0xfffeffff, s60                             // 00000000851C: 863C3CFF FFFEFFFF
	s_and_b32 s61, 0xfffeffff, s61                             // 000000008524: 863D3DFF FFFEFFFF
	v_cndmask_b32_e64 v54, v54, v178, s[60:61]                 // 00000000852C: D1000036 00F36536
	s_lshl_b32 s60, s60, 1                                     // 000000008534: 8E3C813C
	s_lshl_b32 s61, s61, 1                                     // 000000008538: 8E3D813D
	s_and_b32 s60, 0xfffeffff, s60                             // 00000000853C: 863C3CFF FFFEFFFF
	s_and_b32 s61, 0xfffeffff, s61                             // 000000008544: 863D3DFF FFFEFFFF
	v_cndmask_b32_e64 v55, v55, v178, s[60:61]                 // 00000000854C: D1000037 00F36537
	s_branch label_1176                                        // 000000008554: BF820020

0000000000008558 <label_1156>:
	v_mov_b32_e32 v52, v178                                    // 000000008558: 7E6803B2
	v_mov_b32_e32 v53, v178                                    // 00000000855C: 7E6A03B2
	v_mov_b32_e32 v54, v178                                    // 000000008560: 7E6C03B2
	v_mov_b32_e32 v55, v178                                    // 000000008564: 7E6E03B2
	s_branch label_1176                                        // 000000008568: BF82001B

000000000000856c <label_115B>:
	v_cndmask_b32_e64 v56, v56, v178, s[60:61]                 // 00000000856C: D1000038 00F36538
	s_lshl_b32 s60, s60, 1                                     // 000000008574: 8E3C813C
	s_lshl_b32 s61, s61, 1                                     // 000000008578: 8E3D813D
	s_and_b32 s60, 0xfffeffff, s60                             // 00000000857C: 863C3CFF FFFEFFFF
	s_and_b32 s61, 0xfffeffff, s61                             // 000000008584: 863D3DFF FFFEFFFF
	v_cndmask_b32_e64 v57, v57, v178, s[60:61]                 // 00000000858C: D1000039 00F36539
	s_lshl_b32 s60, s60, 1                                     // 000000008594: 8E3C813C
	s_lshl_b32 s61, s61, 1                                     // 000000008598: 8E3D813D
	s_and_b32 s60, 0xfffeffff, s60                             // 00000000859C: 863C3CFF FFFEFFFF
	s_and_b32 s61, 0xfffeffff, s61                             // 0000000085A4: 863D3DFF FFFEFFFF
	v_cndmask_b32_e64 v58, v58, v178, s[60:61]                 // 0000000085AC: D100003A 00F3653A
	s_lshl_b32 s60, s60, 1                                     // 0000000085B4: 8E3C813C
	s_lshl_b32 s61, s61, 1                                     // 0000000085B8: 8E3D813D
	s_and_b32 s60, 0xfffeffff, s60                             // 0000000085BC: 863C3CFF FFFEFFFF
	s_and_b32 s61, 0xfffeffff, s61                             // 0000000085C4: 863D3DFF FFFEFFFF
	v_cndmask_b32_e64 v59, v59, v178, s[60:61]                 // 0000000085CC: D100003B 00F3653B
	s_branch label_1196                                        // 0000000085D4: BF820020

00000000000085d8 <label_1176>:
	v_mov_b32_e32 v56, v178                                    // 0000000085D8: 7E7003B2
	v_mov_b32_e32 v57, v178                                    // 0000000085DC: 7E7203B2
	v_mov_b32_e32 v58, v178                                    // 0000000085E0: 7E7403B2
	v_mov_b32_e32 v59, v178                                    // 0000000085E4: 7E7603B2
	s_branch label_1196                                        // 0000000085E8: BF82001B

00000000000085ec <label_117B>:
	v_cndmask_b32_e64 v60, v60, v178, s[60:61]                 // 0000000085EC: D100003C 00F3653C
	s_lshl_b32 s60, s60, 1                                     // 0000000085F4: 8E3C813C
	s_lshl_b32 s61, s61, 1                                     // 0000000085F8: 8E3D813D
	s_and_b32 s60, 0xfffeffff, s60                             // 0000000085FC: 863C3CFF FFFEFFFF
	s_and_b32 s61, 0xfffeffff, s61                             // 000000008604: 863D3DFF FFFEFFFF
	v_cndmask_b32_e64 v61, v61, v178, s[60:61]                 // 00000000860C: D100003D 00F3653D
	s_lshl_b32 s60, s60, 1                                     // 000000008614: 8E3C813C
	s_lshl_b32 s61, s61, 1                                     // 000000008618: 8E3D813D
	s_and_b32 s60, 0xfffeffff, s60                             // 00000000861C: 863C3CFF FFFEFFFF
	s_and_b32 s61, 0xfffeffff, s61                             // 000000008624: 863D3DFF FFFEFFFF
	v_cndmask_b32_e64 v62, v62, v178, s[60:61]                 // 00000000862C: D100003E 00F3653E
	s_lshl_b32 s60, s60, 1                                     // 000000008634: 8E3C813C
	s_lshl_b32 s61, s61, 1                                     // 000000008638: 8E3D813D
	s_and_b32 s60, 0xfffeffff, s60                             // 00000000863C: 863C3CFF FFFEFFFF
	s_and_b32 s61, 0xfffeffff, s61                             // 000000008644: 863D3DFF FFFEFFFF
	v_cndmask_b32_e64 v63, v63, v178, s[60:61]                 // 00000000864C: D100003F 00F3653F
	s_branch label_119B                                        // 000000008654: BF820005

0000000000008658 <label_1196>:
	v_mov_b32_e32 v60, v178                                    // 000000008658: 7E7803B2
	v_mov_b32_e32 v61, v178                                    // 00000000865C: 7E7A03B2
	v_mov_b32_e32 v62, v178                                    // 000000008660: 7E7C03B2
	v_mov_b32_e32 v63, v178                                    // 000000008664: 7E7E03B2
	s_branch label_119B                                        // 000000008668: BF820000

000000000000866c <label_119B>:
	s_addk_i32 s74, 0x1                                        // 00000000866C: B74A0001
	s_add_u32 s62, 0, s47                                      // 000000008670: 803E2F80
	s_cmp_lt_i32 s74, s62                                      // 000000008674: BF043E4A
	s_cbranch_scc1 label_11C7                                  // 000000008678: BF850028
	s_cmp_eq_i32 s74, s62                                      // 00000000867C: BF003E4A
	s_cbranch_scc1 label_11AC                                  // 000000008680: BF85000B
	s_add_u32 s62, 4, s47                                      // 000000008684: 803E2F84
	s_cmp_lt_i32 s74, s62                                      // 000000008688: BF043E4A
	s_cbranch_scc1 label_11E7                                  // 00000000868C: BF850043
	s_cmp_eq_i32 s74, s62                                      // 000000008690: BF003E4A
	s_cbranch_scc1 label_11CC                                  // 000000008694: BF850026
	s_add_u32 s62, 8, s47                                      // 000000008698: 803E2F88
	s_cmp_lt_i32 s74, s62                                      // 00000000869C: BF043E4A
	s_cbranch_scc1 label_1207                                  // 0000000086A0: BF85005E
	s_cmp_eq_i32 s74, s62                                      // 0000000086A4: BF003E4A
	s_cbranch_scc1 label_11EC                                  // 0000000086A8: BF850041
	s_branch label_120C                                        // 0000000086AC: BF820060

00000000000086b0 <label_11AC>:
	v_cndmask_b32_e64 v64, v64, v178, s[60:61]                 // 0000000086B0: D1000040 00F36540
	s_lshl_b32 s60, s60, 1                                     // 0000000086B8: 8E3C813C
	s_lshl_b32 s61, s61, 1                                     // 0000000086BC: 8E3D813D
	s_and_b32 s60, 0xfffeffff, s60                             // 0000000086C0: 863C3CFF FFFEFFFF
	s_and_b32 s61, 0xfffeffff, s61                             // 0000000086C8: 863D3DFF FFFEFFFF
	v_cndmask_b32_e64 v65, v65, v178, s[60:61]                 // 0000000086D0: D1000041 00F36541
	s_lshl_b32 s60, s60, 1                                     // 0000000086D8: 8E3C813C
	s_lshl_b32 s61, s61, 1                                     // 0000000086DC: 8E3D813D
	s_and_b32 s60, 0xfffeffff, s60                             // 0000000086E0: 863C3CFF FFFEFFFF
	s_and_b32 s61, 0xfffeffff, s61                             // 0000000086E8: 863D3DFF FFFEFFFF
	v_cndmask_b32_e64 v66, v66, v178, s[60:61]                 // 0000000086F0: D1000042 00F36542
	s_lshl_b32 s60, s60, 1                                     // 0000000086F8: 8E3C813C
	s_lshl_b32 s61, s61, 1                                     // 0000000086FC: 8E3D813D
	s_and_b32 s60, 0xfffeffff, s60                             // 000000008700: 863C3CFF FFFEFFFF
	s_and_b32 s61, 0xfffeffff, s61                             // 000000008708: 863D3DFF FFFEFFFF
	v_cndmask_b32_e64 v67, v67, v178, s[60:61]                 // 000000008710: D1000043 00F36543
	s_branch label_11E7                                        // 000000008718: BF820020

000000000000871c <label_11C7>:
	v_mov_b32_e32 v64, v178                                    // 00000000871C: 7E8003B2
	v_mov_b32_e32 v65, v178                                    // 000000008720: 7E8203B2
	v_mov_b32_e32 v66, v178                                    // 000000008724: 7E8403B2
	v_mov_b32_e32 v67, v178                                    // 000000008728: 7E8603B2
	s_branch label_11E7                                        // 00000000872C: BF82001B

0000000000008730 <label_11CC>:
	v_cndmask_b32_e64 v68, v68, v178, s[60:61]                 // 000000008730: D1000044 00F36544
	s_lshl_b32 s60, s60, 1                                     // 000000008738: 8E3C813C
	s_lshl_b32 s61, s61, 1                                     // 00000000873C: 8E3D813D
	s_and_b32 s60, 0xfffeffff, s60                             // 000000008740: 863C3CFF FFFEFFFF
	s_and_b32 s61, 0xfffeffff, s61                             // 000000008748: 863D3DFF FFFEFFFF
	v_cndmask_b32_e64 v69, v69, v178, s[60:61]                 // 000000008750: D1000045 00F36545
	s_lshl_b32 s60, s60, 1                                     // 000000008758: 8E3C813C
	s_lshl_b32 s61, s61, 1                                     // 00000000875C: 8E3D813D
	s_and_b32 s60, 0xfffeffff, s60                             // 000000008760: 863C3CFF FFFEFFFF
	s_and_b32 s61, 0xfffeffff, s61                             // 000000008768: 863D3DFF FFFEFFFF
	v_cndmask_b32_e64 v70, v70, v178, s[60:61]                 // 000000008770: D1000046 00F36546
	s_lshl_b32 s60, s60, 1                                     // 000000008778: 8E3C813C
	s_lshl_b32 s61, s61, 1                                     // 00000000877C: 8E3D813D
	s_and_b32 s60, 0xfffeffff, s60                             // 000000008780: 863C3CFF FFFEFFFF
	s_and_b32 s61, 0xfffeffff, s61                             // 000000008788: 863D3DFF FFFEFFFF
	v_cndmask_b32_e64 v71, v71, v178, s[60:61]                 // 000000008790: D1000047 00F36547
	s_branch label_1207                                        // 000000008798: BF820020

000000000000879c <label_11E7>:
	v_mov_b32_e32 v68, v178                                    // 00000000879C: 7E8803B2
	v_mov_b32_e32 v69, v178                                    // 0000000087A0: 7E8A03B2
	v_mov_b32_e32 v70, v178                                    // 0000000087A4: 7E8C03B2
	v_mov_b32_e32 v71, v178                                    // 0000000087A8: 7E8E03B2
	s_branch label_1207                                        // 0000000087AC: BF82001B

00000000000087b0 <label_11EC>:
	v_cndmask_b32_e64 v72, v72, v178, s[60:61]                 // 0000000087B0: D1000048 00F36548
	s_lshl_b32 s60, s60, 1                                     // 0000000087B8: 8E3C813C
	s_lshl_b32 s61, s61, 1                                     // 0000000087BC: 8E3D813D
	s_and_b32 s60, 0xfffeffff, s60                             // 0000000087C0: 863C3CFF FFFEFFFF
	s_and_b32 s61, 0xfffeffff, s61                             // 0000000087C8: 863D3DFF FFFEFFFF
	v_cndmask_b32_e64 v73, v73, v178, s[60:61]                 // 0000000087D0: D1000049 00F36549
	s_lshl_b32 s60, s60, 1                                     // 0000000087D8: 8E3C813C
	s_lshl_b32 s61, s61, 1                                     // 0000000087DC: 8E3D813D
	s_and_b32 s60, 0xfffeffff, s60                             // 0000000087E0: 863C3CFF FFFEFFFF
	s_and_b32 s61, 0xfffeffff, s61                             // 0000000087E8: 863D3DFF FFFEFFFF
	v_cndmask_b32_e64 v74, v74, v178, s[60:61]                 // 0000000087F0: D100004A 00F3654A
	s_lshl_b32 s60, s60, 1                                     // 0000000087F8: 8E3C813C
	s_lshl_b32 s61, s61, 1                                     // 0000000087FC: 8E3D813D
	s_and_b32 s60, 0xfffeffff, s60                             // 000000008800: 863C3CFF FFFEFFFF
	s_and_b32 s61, 0xfffeffff, s61                             // 000000008808: 863D3DFF FFFEFFFF
	v_cndmask_b32_e64 v75, v75, v178, s[60:61]                 // 000000008810: D100004B 00F3654B
	s_branch label_120C                                        // 000000008818: BF820005

000000000000881c <label_1207>:
	v_mov_b32_e32 v72, v178                                    // 00000000881C: 7E9003B2
	v_mov_b32_e32 v73, v178                                    // 000000008820: 7E9203B2
	v_mov_b32_e32 v74, v178                                    // 000000008824: 7E9403B2
	v_mov_b32_e32 v75, v178                                    // 000000008828: 7E9603B2
	s_branch label_120C                                        // 00000000882C: BF820000

0000000000008830 <label_120C>:
	s_addk_i32 s74, 0x1                                        // 000000008830: B74A0001
	s_waitcnt lgkmcnt(8)                                       // 000000008834: BF8CC87F
	s_barrier                                                  // 000000008838: BF8A0000
	v_mfma_f32_16x16x16_bf16 v[76:79], v[108:109], a[72:73], 0 // 00000000883C: D3E1004C 1202916C
	v_fma_f32 v52, v52, s57, -v140                             // 000000008844: D1CB0034 86307334
	v_fma_f32 v53, v53, s57, -v141                             // 00000000884C: D1CB0035 86347335
	v_fma_f32 v54, v54, s57, -v142                             // 000000008854: D1CB0036 86387336
	v_fma_f32 v55, v55, s57, -v143                             // 00000000885C: D1CB0037 863C7337
	v_fma_f32 v56, v56, s57, -v140                             // 000000008864: D1CB0038 86307338
	v_fma_f32 v57, v57, s57, -v141                             // 00000000886C: D1CB0039 86347339
	v_mfma_f32_16x16x16_bf16 v[76:79], v[110:111], a[74:75], v[76:79]// 000000008874: D3E1004C 1532956E
	ds_read_b128 a[96:99], v18 offset:4352                     // 00000000887C: DBFE1100 60000012
	ds_read_b128 a[100:103], v18 offset:4864                   // 000000008884: DBFE1300 64000012
	v_mfma_f32_16x16x16_bf16 v[76:79], v[112:113], a[76:77], v[76:79]// 00000000888C: D3E1004C 15329970
	v_fma_f32 v58, v58, s57, -v142                             // 000000008894: D1CB003A 8638733A
	v_fma_f32 v59, v59, s57, -v143                             // 00000000889C: D1CB003B 863C733B
	v_fma_f32 v60, v60, s57, -v140                             // 0000000088A4: D1CB003C 8630733C
	v_fma_f32 v61, v61, s57, -v141                             // 0000000088AC: D1CB003D 8634733D
	v_fma_f32 v62, v62, s57, -v142                             // 0000000088B4: D1CB003E 8638733E
	v_fma_f32 v63, v63, s57, -v143                             // 0000000088BC: D1CB003F 863C733F
	v_mfma_f32_16x16x16_bf16 v[76:79], v[114:115], a[78:79], v[76:79]// 0000000088C4: D3E1004C 15329D72
	v_fma_f32 v64, v64, s57, -v144                             // 0000000088CC: D1CB0040 86407340
	v_fma_f32 v65, v65, s57, -v145                             // 0000000088D4: D1CB0041 86447341
	v_fma_f32 v66, v66, s57, -v146                             // 0000000088DC: D1CB0042 86487342
	v_fma_f32 v67, v67, s57, -v147                             // 0000000088E4: D1CB0043 864C7343
	v_fma_f32 v68, v68, s57, -v144                             // 0000000088EC: D1CB0044 86407344
	v_fma_f32 v69, v69, s57, -v145                             // 0000000088F4: D1CB0045 86447345
	v_mfma_f32_16x16x16_bf16 v[80:83], v[108:109], a[80:81], 0 // 0000000088FC: D3E10050 1202A16C
	v_fma_f32 v70, v70, s57, -v146                             // 000000008904: D1CB0046 86487346
	v_fma_f32 v71, v71, s57, -v147                             // 00000000890C: D1CB0047 864C7347
	v_fma_f32 v72, v72, s57, -v144                             // 000000008914: D1CB0048 86407348
	v_fma_f32 v73, v73, s57, -v145                             // 00000000891C: D1CB0049 86447349
	v_fma_f32 v74, v74, s57, -v146                             // 000000008924: D1CB004A 8648734A
	v_fma_f32 v75, v75, s57, -v147                             // 00000000892C: D1CB004B 864C734B
	v_mfma_f32_16x16x16_bf16 v[80:83], v[110:111], a[82:83], v[80:83]// 000000008934: D3E10050 1542A56E
	ds_read_b128 a[104:107], v18 offset:6528                   // 00000000893C: DBFE1980 68000012
	ds_read_b128 a[108:111], v18 offset:7040                   // 000000008944: DBFE1B80 6C000012
	v_mfma_f32_16x16x16_bf16 v[80:83], v[112:113], a[84:85], v[80:83]// 00000000894C: D3E10050 1542A970
	v_exp_f32_e32 v52, v52                                     // 000000008954: 7E684134
	v_exp_f32_e32 v53, v53                                     // 000000008958: 7E6A4135
	v_mfma_f32_16x16x16_bf16 v[80:83], v[114:115], a[86:87], v[80:83]// 00000000895C: D3E10050 1542AD72
	v_exp_f32_e32 v54, v54                                     // 000000008964: 7E6C4136
	v_exp_f32_e32 v55, v55                                     // 000000008968: 7E6E4137
	v_mfma_f32_16x16x16_bf16 v[84:87], v[108:109], a[88:89], 0 // 00000000896C: D3E10054 1202B16C
	v_exp_f32_e32 v56, v56                                     // 000000008974: 7E704138
	v_exp_f32_e32 v57, v57                                     // 000000008978: 7E724139
	v_mfma_f32_16x16x16_bf16 v[84:87], v[110:111], a[90:91], v[84:87]// 00000000897C: D3E10054 1552B56E
	ds_read_b32 v156, v25 offset:31232                         // 000000008984: D86C7A00 9C000019
	ds_read_b32 v157, v25 offset:31248                         // 00000000898C: D86C7A10 9D000019
	v_mfma_f32_16x16x16_bf16 v[84:87], v[112:113], a[92:93], v[84:87]// 000000008994: D3E10054 1552B970
	v_exp_f32_e32 v58, v58                                     // 00000000899C: 7E74413A
	v_exp_f32_e32 v59, v59                                     // 0000000089A0: 7E76413B
	v_mfma_f32_16x16x16_bf16 v[84:87], v[114:115], a[94:95], v[84:87]// 0000000089A4: D3E10054 1552BD72
	ds_read_b32 v158, v25 offset:31264                         // 0000000089AC: D86C7A20 9E000019
	ds_read_b32 v159, v25 offset:31280                         // 0000000089B4: D86C7A30 9F000019
	v_mfma_f32_16x16x16_bf16 v[88:91], v[116:117], a[72:73], 0 // 0000000089BC: D3E10058 12029174
	v_exp_f32_e32 v60, v60                                     // 0000000089C4: 7E78413C
	v_exp_f32_e32 v61, v61                                     // 0000000089C8: 7E7A413D
	v_mfma_f32_16x16x16_bf16 v[88:91], v[118:119], a[74:75], v[88:91]// 0000000089CC: D3E10058 15629576
	v_exp_f32_e32 v62, v62                                     // 0000000089D4: 7E7C413E
	v_exp_f32_e32 v63, v63                                     // 0000000089D8: 7E7E413F
	v_mfma_f32_16x16x16_bf16 v[88:91], v[120:121], a[76:77], v[88:91]// 0000000089DC: D3E10058 15629978
	v_exp_f32_e32 v64, v64                                     // 0000000089E4: 7E804140
	v_exp_f32_e32 v65, v65                                     // 0000000089E8: 7E824141
	v_mfma_f32_16x16x16_bf16 v[88:91], v[122:123], a[78:79], v[88:91]// 0000000089EC: D3E10058 15629D7A
	v_exp_f32_e32 v66, v66                                     // 0000000089F4: 7E844142
	v_exp_f32_e32 v67, v67                                     // 0000000089F8: 7E864143
	v_mfma_f32_16x16x16_bf16 v[92:95], v[116:117], a[80:81], 0 // 0000000089FC: D3E1005C 1202A174
	v_exp_f32_e32 v68, v68                                     // 000000008A04: 7E884144
	v_exp_f32_e32 v69, v69                                     // 000000008A08: 7E8A4145
	v_mfma_f32_16x16x16_bf16 v[92:95], v[118:119], a[82:83], v[92:95]// 000000008A0C: D3E1005C 1572A576
	v_exp_f32_e32 v70, v70                                     // 000000008A14: 7E8C4146
	v_exp_f32_e32 v71, v71                                     // 000000008A18: 7E8E4147
	v_mfma_f32_16x16x16_bf16 v[92:95], v[120:121], a[84:85], v[92:95]// 000000008A1C: D3E1005C 1572A978
	v_exp_f32_e32 v72, v72                                     // 000000008A24: 7E904148
	v_exp_f32_e32 v73, v73                                     // 000000008A28: 7E924149
	v_mfma_f32_16x16x16_bf16 v[92:95], v[122:123], a[86:87], v[92:95]// 000000008A2C: D3E1005C 1572AD7A
	v_exp_f32_e32 v74, v74                                     // 000000008A34: 7E94414A
	v_exp_f32_e32 v75, v75                                     // 000000008A38: 7E96414B
	v_mfma_f32_16x16x16_bf16 v[96:99], v[116:117], a[88:89], 0 // 000000008A3C: D3E10060 1202B174
	v_perm_b32 v164, v53, v52, s64                             // 000000008A44: D1ED00A4 01026935
	v_perm_b32 v165, v55, v54, s64                             // 000000008A4C: D1ED00A5 01026D37
	v_perm_b32 v166, v57, v56, s64                             // 000000008A54: D1ED00A6 01027139
	v_perm_b32 v167, v59, v58, s64                             // 000000008A5C: D1ED00A7 0102753B
	v_perm_b32 v168, v61, v60, s64                             // 000000008A64: D1ED00A8 0102793D
	v_perm_b32 v169, v63, v62, s64                             // 000000008A6C: D1ED00A9 01027D3F
	v_mfma_f32_16x16x16_bf16 v[96:99], v[118:119], a[90:91], v[96:99]// 000000008A74: D3E10060 1582B576
	v_perm_b32 v170, v65, v64, s64                             // 000000008A7C: D1ED00AA 01028141
	v_perm_b32 v171, v67, v66, s64                             // 000000008A84: D1ED00AB 01028543
	v_perm_b32 v172, v69, v68, s64                             // 000000008A8C: D1ED00AC 01028945
	v_perm_b32 v173, v71, v70, s64                             // 000000008A94: D1ED00AD 01028D47
	v_perm_b32 v174, v73, v72, s64                             // 000000008A9C: D1ED00AE 01029149
	v_perm_b32 v175, v75, v74, s64                             // 000000008AA4: D1ED00AF 0102954B
	v_mfma_f32_16x16x16_bf16 v[96:99], v[120:121], a[92:93], v[96:99]// 000000008AAC: D3E10060 1582B978
	s_add_u32 s32, s66, s32                                    // 000000008AB4: 80202042
	s_addc_u32 s33, 0, s33                                     // 000000008AB8: 82212180
	v_mfma_f32_16x16x16_bf16 v[96:99], v[122:123], a[94:95], v[96:99]// 000000008ABC: D3E10060 1582BD7A
	s_waitcnt lgkmcnt(0)                                       // 000000008AC4: BF8CC07F
	s_barrier                                                  // 000000008AC8: BF8A0000
	v_mfma_f32_16x16x16_bf16 v[180:183], v[124:125], v[164:165], v[180:183]// 000000008ACC: D3E100B4 06D3497C
	v_subrev_f32_dpp v76, v176, v76 quad_perm:[0,0,0,0] row_mask:0xf bank_mask:0xf// 000000008AD4: 069898FA FF0000B0
	v_subrev_f32_dpp v77, v176, v77 quad_perm:[1,1,1,1] row_mask:0xf bank_mask:0xf// 000000008ADC: 069A9AFA FF0055B0
	v_subrev_f32_dpp v78, v176, v78 quad_perm:[2,2,2,2] row_mask:0xf bank_mask:0xf// 000000008AE4: 069C9CFA FF00AAB0
	v_subrev_f32_dpp v79, v176, v79 quad_perm:[3,3,3,3] row_mask:0xf bank_mask:0xf// 000000008AEC: 069E9EFA FF00FFB0
	v_subrev_f32_dpp v80, v176, v80 quad_perm:[0,0,0,0] row_mask:0xf bank_mask:0xf// 000000008AF4: 06A0A0FA FF0000B0
	v_subrev_f32_dpp v81, v176, v81 quad_perm:[1,1,1,1] row_mask:0xf bank_mask:0xf// 000000008AFC: 06A2A2FA FF0055B0
	v_mfma_f32_16x16x16_bf16 v[184:187], v[126:127], v[164:165], v[184:187]// 000000008B04: D3E100B8 06E3497E
	v_subrev_f32_dpp v82, v176, v82 quad_perm:[2,2,2,2] row_mask:0xf bank_mask:0xf// 000000008B0C: 06A4A4FA FF00AAB0
	v_subrev_f32_dpp v83, v176, v83 quad_perm:[3,3,3,3] row_mask:0xf bank_mask:0xf// 000000008B14: 06A6A6FA FF00FFB0
	v_subrev_f32_dpp v84, v176, v84 quad_perm:[0,0,0,0] row_mask:0xf bank_mask:0xf// 000000008B1C: 06A8A8FA FF0000B0
	v_subrev_f32_dpp v85, v176, v85 quad_perm:[1,1,1,1] row_mask:0xf bank_mask:0xf// 000000008B24: 06AAAAFA FF0055B0
	v_subrev_f32_dpp v86, v176, v86 quad_perm:[2,2,2,2] row_mask:0xf bank_mask:0xf// 000000008B2C: 06ACACFA FF00AAB0
	v_subrev_f32_dpp v87, v176, v87 quad_perm:[3,3,3,3] row_mask:0xf bank_mask:0xf// 000000008B34: 06AEAEFA FF00FFB0
	v_mfma_f32_16x16x16_bf16 v[188:191], v[128:129], v[164:165], v[188:191]// 000000008B3C: D3E100BC 06F34980
	v_mul_f32_e32 v76, v52, v76                                // 000000008B44: 0A989934
	v_mul_f32_e32 v77, v53, v77                                // 000000008B48: 0A9A9B35
	v_mul_f32_e32 v78, v54, v78                                // 000000008B4C: 0A9C9D36
	v_mul_f32_e32 v79, v55, v79                                // 000000008B50: 0A9E9F37
	v_mul_f32_e32 v80, v56, v80                                // 000000008B54: 0AA0A138
	v_mul_f32_e32 v81, v57, v81                                // 000000008B58: 0AA2A339
	v_mfma_f32_16x16x16_bf16 v[192:195], v[130:131], v[164:165], v[192:195]// 000000008B5C: D3E100C0 07034982
	v_mul_f32_e32 v82, v58, v82                                // 000000008B64: 0AA4A53A
	v_mul_f32_e32 v83, v59, v83                                // 000000008B68: 0AA6A73B
	v_mul_f32_e32 v84, v60, v84                                // 000000008B6C: 0AA8A93C
	v_mul_f32_e32 v85, v61, v85                                // 000000008B70: 0AAAAB3D
	v_mul_f32_e32 v86, v62, v86                                // 000000008B74: 0AACAD3E
	v_mul_f32_e32 v87, v63, v87                                // 000000008B78: 0AAEAF3F
	v_mfma_f32_16x16x16_bf16 v[196:199], v[124:125], v[166:167], v[196:199]// 000000008B7C: D3E100C4 07134D7C
	v_perm_b32 v76, v77, v76, s64                              // 000000008B84: D1ED004C 0102994D
	v_perm_b32 v77, v79, v78, s64                              // 000000008B8C: D1ED004D 01029D4F
	v_perm_b32 v78, v81, v80, s64                              // 000000008B94: D1ED004E 0102A151
	v_perm_b32 v79, v83, v82, s64                              // 000000008B9C: D1ED004F 0102A553
	v_perm_b32 v80, v85, v84, s64                              // 000000008BA4: D1ED0050 0102A955
	v_perm_b32 v81, v87, v86, s64                              // 000000008BAC: D1ED0051 0102AD57
	v_mfma_f32_16x16x16_bf16 v[200:203], v[126:127], v[166:167], v[200:203]// 000000008BB4: D3E100C8 07234D7E
	v_mov_b32_dpp v22, v76 quad_perm:[1,0,3,2] row_mask:0xf bank_mask:0xf// 000000008BBC: 7E2C02FA FF00B14C
	v_perm_b32 v52, v22, v76, v21                              // 000000008BC4: D1ED0034 04569916
	v_mov_b32_dpp v22, v77 quad_perm:[1,0,3,2] row_mask:0xf bank_mask:0xf// 000000008BCC: 7E2C02FA FF00B14D
	v_perm_b32 v53, v22, v77, v21                              // 000000008BD4: D1ED0035 04569B16
	v_mov_b32_dpp v22, v78 quad_perm:[1,0,3,2] row_mask:0xf bank_mask:0xf// 000000008BDC: 7E2C02FA FF00B14E
	v_perm_b32 v54, v22, v78, v21                              // 000000008BE4: D1ED0036 04569D16
	v_mfma_f32_16x16x16_bf16 v[204:207], v[128:129], v[166:167], v[204:207]// 000000008BEC: D3E100CC 07334D80
	ds_write_b32 v24, v52 offset:17408                         // 000000008BF4: D81A4400 00003418
	ds_write_b32 v24, v53 offset:17952                         // 000000008BFC: D81A4620 00003518
	v_mfma_f32_16x16x16_bf16 v[208:211], v[130:131], v[166:167], v[208:211]// 000000008C04: D3E100D0 07434D82
	v_mov_b32_dpp v22, v79 quad_perm:[1,0,3,2] row_mask:0xf bank_mask:0xf// 000000008C0C: 7E2C02FA FF00B14F
	v_perm_b32 v55, v22, v79, v21                              // 000000008C14: D1ED0037 04569F16
	v_mov_b32_dpp v22, v80 quad_perm:[1,0,3,2] row_mask:0xf bank_mask:0xf// 000000008C1C: 7E2C02FA FF00B150
	v_perm_b32 v56, v22, v80, v21                              // 000000008C24: D1ED0038 0456A116
	v_mov_b32_dpp v22, v81 quad_perm:[1,0,3,2] row_mask:0xf bank_mask:0xf// 000000008C2C: 7E2C02FA FF00B151
	v_perm_b32 v57, v22, v81, v21                              // 000000008C34: D1ED0039 0456A316
	v_mfma_f32_16x16x16_bf16 v[212:215], v[124:125], v[168:169], v[212:215]// 000000008C3C: D3E100D4 0753517C
	ds_write_b32 v24, v54 offset:19712                         // 000000008C44: D81A4D00 00003618
	ds_write_b32 v24, v55 offset:20256                         // 000000008C4C: D81A4F20 00003718
	v_mfma_f32_16x16x16_bf16 v[216:219], v[126:127], v[168:169], v[216:219]// 000000008C54: D3E100D8 0763517E
	v_subrev_f32_dpp v88, v177, v88 quad_perm:[0,0,0,0] row_mask:0xf bank_mask:0xf// 000000008C5C: 06B0B0FA FF0000B1
	v_subrev_f32_dpp v89, v177, v89 quad_perm:[1,1,1,1] row_mask:0xf bank_mask:0xf// 000000008C64: 06B2B2FA FF0055B1
	v_subrev_f32_dpp v90, v177, v90 quad_perm:[2,2,2,2] row_mask:0xf bank_mask:0xf// 000000008C6C: 06B4B4FA FF00AAB1
	v_subrev_f32_dpp v91, v177, v91 quad_perm:[3,3,3,3] row_mask:0xf bank_mask:0xf// 000000008C74: 06B6B6FA FF00FFB1
	v_subrev_f32_dpp v92, v177, v92 quad_perm:[0,0,0,0] row_mask:0xf bank_mask:0xf// 000000008C7C: 06B8B8FA FF0000B1
	v_subrev_f32_dpp v93, v177, v93 quad_perm:[1,1,1,1] row_mask:0xf bank_mask:0xf// 000000008C84: 06BABAFA FF0055B1
	v_mfma_f32_16x16x16_bf16 v[220:223], v[128:129], v[168:169], v[220:223]// 000000008C8C: D3E100DC 07735180
	ds_write_b32 v24, v56 offset:22016                         // 000000008C94: D81A5600 00003818
	ds_write_b32 v24, v57 offset:22560                         // 000000008C9C: D81A5820 00003918
	v_mfma_f32_16x16x16_bf16 v[224:227], v[130:131], v[168:169], v[224:227]// 000000008CA4: D3E100E0 07835182
	v_subrev_f32_dpp v94, v177, v94 quad_perm:[2,2,2,2] row_mask:0xf bank_mask:0xf// 000000008CAC: 06BCBCFA FF00AAB1
	v_subrev_f32_dpp v95, v177, v95 quad_perm:[3,3,3,3] row_mask:0xf bank_mask:0xf// 000000008CB4: 06BEBEFA FF00FFB1
	v_subrev_f32_dpp v96, v177, v96 quad_perm:[0,0,0,0] row_mask:0xf bank_mask:0xf// 000000008CBC: 06C0C0FA FF0000B1
	v_subrev_f32_dpp v97, v177, v97 quad_perm:[1,1,1,1] row_mask:0xf bank_mask:0xf// 000000008CC4: 06C2C2FA FF0055B1
	v_subrev_f32_dpp v98, v177, v98 quad_perm:[2,2,2,2] row_mask:0xf bank_mask:0xf// 000000008CCC: 06C4C4FA FF00AAB1
	v_subrev_f32_dpp v99, v177, v99 quad_perm:[3,3,3,3] row_mask:0xf bank_mask:0xf// 000000008CD4: 06C6C6FA FF00FFB1
	v_mfma_f32_16x16x16_bf16 v[180:183], v[132:133], v[170:171], v[180:183]// 000000008CDC: D3E100B4 06D35584
	v_mul_f32_e32 v88, v64, v88                                // 000000008CE4: 0AB0B140
	v_mul_f32_e32 v89, v65, v89                                // 000000008CE8: 0AB2B341
	v_mul_f32_e32 v90, v66, v90                                // 000000008CEC: 0AB4B542
	v_mul_f32_e32 v91, v67, v91                                // 000000008CF0: 0AB6B743
	v_mul_f32_e32 v92, v68, v92                                // 000000008CF4: 0AB8B944
	v_mul_f32_e32 v93, v69, v93                                // 000000008CF8: 0ABABB45
	v_mfma_f32_16x16x16_bf16 v[184:187], v[134:135], v[170:171], v[184:187]// 000000008CFC: D3E100B8 06E35586
	v_mul_f32_e32 v94, v70, v94                                // 000000008D04: 0ABCBD46
	v_mul_f32_e32 v95, v71, v95                                // 000000008D08: 0ABEBF47
	v_mul_f32_e32 v96, v72, v96                                // 000000008D0C: 0AC0C148
	v_mul_f32_e32 v97, v73, v97                                // 000000008D10: 0AC2C349
	v_mul_f32_e32 v98, v74, v98                                // 000000008D14: 0AC4C54A
	v_mul_f32_e32 v99, v75, v99                                // 000000008D18: 0AC6C74B
	v_mfma_f32_16x16x16_bf16 v[188:191], v[136:137], v[170:171], v[188:191]// 000000008D1C: D3E100BC 06F35588
	v_perm_b32 v82, v89, v88, s64                              // 000000008D24: D1ED0052 0102B159
	v_perm_b32 v83, v91, v90, s64                              // 000000008D2C: D1ED0053 0102B55B
	v_perm_b32 v84, v93, v92, s64                              // 000000008D34: D1ED0054 0102B95D
	v_perm_b32 v85, v95, v94, s64                              // 000000008D3C: D1ED0055 0102BD5F
	v_perm_b32 v86, v97, v96, s64                              // 000000008D44: D1ED0056 0102C161
	v_perm_b32 v87, v99, v98, s64                              // 000000008D4C: D1ED0057 0102C563
	v_mfma_f32_16x16x16_bf16 v[192:195], v[138:139], v[170:171], v[192:195]// 000000008D54: D3E100C0 0703558A
	v_mov_b32_dpp v22, v82 quad_perm:[1,0,3,2] row_mask:0xf bank_mask:0xf// 000000008D5C: 7E2C02FA FF00B152
	v_perm_b32 v58, v22, v82, v21                              // 000000008D64: D1ED003A 0456A516
	v_mov_b32_dpp v22, v83 quad_perm:[1,0,3,2] row_mask:0xf bank_mask:0xf// 000000008D6C: 7E2C02FA FF00B153
	v_perm_b32 v59, v22, v83, v21                              // 000000008D74: D1ED003B 0456A716
	v_mov_b32_dpp v22, v84 quad_perm:[1,0,3,2] row_mask:0xf bank_mask:0xf// 000000008D7C: 7E2C02FA FF00B154
	v_perm_b32 v60, v22, v84, v21                              // 000000008D84: D1ED003C 0456A916
	v_mfma_f32_16x16x16_bf16 v[196:199], v[132:133], v[172:173], v[196:199]// 000000008D8C: D3E100C4 07135984
	ds_write_b32 v24, v58 offset:24320                         // 000000008D94: D81A5F00 00003A18
	ds_write_b32 v24, v59 offset:24864                         // 000000008D9C: D81A6120 00003B18
	v_mfma_f32_16x16x16_bf16 v[200:203], v[134:135], v[172:173], v[200:203]// 000000008DA4: D3E100C8 07235986
	v_mov_b32_dpp v22, v85 quad_perm:[1,0,3,2] row_mask:0xf bank_mask:0xf// 000000008DAC: 7E2C02FA FF00B155
	v_perm_b32 v61, v22, v85, v21                              // 000000008DB4: D1ED003D 0456AB16
	v_mov_b32_dpp v22, v86 quad_perm:[1,0,3,2] row_mask:0xf bank_mask:0xf// 000000008DBC: 7E2C02FA FF00B156
	v_perm_b32 v62, v22, v86, v21                              // 000000008DC4: D1ED003E 0456AD16
	v_mov_b32_dpp v22, v87 quad_perm:[1,0,3,2] row_mask:0xf bank_mask:0xf// 000000008DCC: 7E2C02FA FF00B157
	v_perm_b32 v63, v22, v87, v21                              // 000000008DD4: D1ED003F 0456AF16
	v_mfma_f32_16x16x16_bf16 v[204:207], v[136:137], v[172:173], v[204:207]// 000000008DDC: D3E100CC 07335988
	ds_write_b32 v24, v60 offset:26624                         // 000000008DE4: D81A6800 00003C18
	ds_write_b32 v24, v61 offset:27168                         // 000000008DEC: D81A6A20 00003D18
	ds_write_b32 v24, v62 offset:28928                         // 000000008DF4: D81A7100 00003E18
	ds_write_b32 v24, v63 offset:29472                         // 000000008DFC: D81A7320 00003F18
	v_mfma_f32_16x16x16_bf16 v[208:211], v[138:139], v[172:173], v[208:211]// 000000008E04: D3E100D0 0743598A
	v_mfma_f32_16x16x16_bf16 v[212:215], v[132:133], v[174:175], v[212:215]// 000000008E0C: D3E100D4 07535D84
	ds_write_b32 v19, v100 offset:4352                         // 000000008E14: D81A1100 00006413
	ds_write_b32 v19, v101 offset:5408                         // 000000008E1C: D81A1520 00006513
	v_mfma_f32_16x16x16_bf16 v[216:219], v[134:135], v[174:175], v[216:219]// 000000008E24: D3E100D8 07635D86
	v_mfma_f32_16x16x16_bf16 v[220:223], v[136:137], v[174:175], v[220:223]// 000000008E2C: D3E100DC 07735D88
	ds_write_b32 v19, v102 offset:6528                         // 000000008E34: D81A1980 00006613
	ds_write_b32 v19, v103 offset:7584                         // 000000008E3C: D81A1DA0 00006713
	v_mfma_f32_16x16x16_bf16 v[224:227], v[138:139], v[174:175], v[224:227]// 000000008E44: D3E100E0 07835D8A
	s_nop 0                                                    // 000000008E4C: BF800000
	s_nop 0                                                    // 000000008E50: BF800000
	s_nop 0                                                    // 000000008E54: BF800000
	s_barrier                                                  // 000000008E58: BF8A0000
	v_mfma_f32_16x16x16_bf16 a[112:115], a[96:97], v[76:77], a[112:115]// 000000008E5C: D3E18070 0DC29960
	ds_read_b32 v140, v27 offset:35584                         // 000000008E64: D86C8B00 8C00001B
	ds_read_b32 v144, v27 offset:35648                         // 000000008E6C: D86C8B40 9000001B
	ds_read_b32 v176, v27 offset:35840                         // 000000008E74: D86C8C00 B000001B
	ds_read_b32 v177, v27 offset:35904                         // 000000008E7C: D86C8C40 B100001B
	v_mfma_f32_16x16x16_bf16 a[116:119], a[98:99], v[76:77], a[116:119]// 000000008E84: D3E18074 0DD29962
	global_atomic_pk_add_bf16 v6, v156, s[32:33]               // 000000008E8C: DD488000 00209C06
	v_mfma_f32_16x16x16_bf16 a[120:123], a[100:101], v[76:77], a[120:123]// 000000008E94: D3E18078 0DE29964
	s_waitcnt lgkmcnt(8)                                       // 000000008E9C: BF8CC87F
	s_barrier                                                  // 000000008EA0: BF8A0000
	v_mfma_f32_16x16x16_bf16 a[124:127], a[102:103], v[76:77], a[124:127]// 000000008EA4: D3E1807C 0DF29966
	v_mfma_f32_16x16x16_bf16 a[128:131], a[96:97], v[78:79], a[128:131]// 000000008EAC: D3E18080 0E029D60
	ds_read_b128 v[52:55], v23 offset:17408                    // 000000008EB4: D9FE4400 34000017
	v_mfma_f32_16x16x16_bf16 a[132:135], a[98:99], v[78:79], a[132:135]// 000000008EBC: D3E18084 0E129D62
	v_mfma_f32_16x16x16_bf16 a[136:139], a[100:101], v[78:79], a[136:139]// 000000008EC4: D3E18088 0E229D64
	ds_read_b128 v[56:59], v23 offset:18560                    // 000000008ECC: D9FE4880 38000017
	v_mfma_f32_16x16x16_bf16 a[140:143], a[102:103], v[78:79], a[140:143]// 000000008ED4: D3E1808C 0E329D66
	global_atomic_pk_add_bf16 v8, v157, s[32:33]               // 000000008EDC: DD488000 00209D08
	v_mfma_f32_16x16x16_bf16 a[144:147], a[96:97], v[80:81], a[144:147]// 000000008EE4: D3E18090 0E42A160
	ds_read_b128 v[60:63], v23 offset:19712                    // 000000008EEC: D9FE4D00 3C000017
	v_mfma_f32_16x16x16_bf16 a[148:151], a[98:99], v[80:81], a[148:151]// 000000008EF4: D3E18094 0E52A162
	v_mfma_f32_16x16x16_bf16 a[152:155], a[100:101], v[80:81], a[152:155]// 000000008EFC: D3E18098 0E62A164
	ds_read_b128 v[64:67], v23 offset:20864                    // 000000008F04: D9FE5180 40000017
	v_mfma_f32_16x16x16_bf16 a[156:159], a[102:103], v[80:81], a[156:159]// 000000008F0C: D3E1809C 0E72A166
	v_mfma_f32_16x16x16_bf16 a[112:115], a[104:105], v[82:83], a[112:115]// 000000008F14: D3E18070 0DC2A568
	ds_read_b128 v[68:71], v23 offset:22016                    // 000000008F1C: D9FE5600 44000017
	v_mfma_f32_16x16x16_bf16 a[116:119], a[106:107], v[82:83], a[116:119]// 000000008F24: D3E18074 0DD2A56A
	global_atomic_pk_add_bf16 v10, v158, s[32:33]              // 000000008F2C: DD488000 00209E0A
	v_mfma_f32_16x16x16_bf16 a[120:123], a[108:109], v[82:83], a[120:123]// 000000008F34: D3E18078 0DE2A56C
	ds_read_b128 v[72:75], v23 offset:23168                    // 000000008F3C: D9FE5A80 48000017
	v_mfma_f32_16x16x16_bf16 a[124:127], a[110:111], v[82:83], a[124:127]// 000000008F44: D3E1807C 0DF2A56E
	v_mfma_f32_16x16x16_bf16 a[128:131], a[104:105], v[84:85], a[128:131]// 000000008F4C: D3E18080 0E02A968
	ds_write_b32 v19, v104 offset:13056                        // 000000008F54: D81A3300 00006813
	v_mfma_f32_16x16x16_bf16 a[132:135], a[106:107], v[84:85], a[132:135]// 000000008F5C: D3E18084 0E12A96A
	v_mfma_f32_16x16x16_bf16 a[136:139], a[108:109], v[84:85], a[136:139]// 000000008F64: D3E18088 0E22A96C
	ds_write_b32 v19, v105 offset:14112                        // 000000008F6C: D81A3720 00006913
	v_mfma_f32_16x16x16_bf16 a[140:143], a[110:111], v[84:85], a[140:143]// 000000008F74: D3E1808C 0E32A96E
	global_atomic_pk_add_bf16 v12, v159, s[32:33]              // 000000008F7C: DD488000 00209F0C
	v_mfma_f32_16x16x16_bf16 a[144:147], a[104:105], v[86:87], a[144:147]// 000000008F84: D3E18090 0E42AD68
	ds_write_b32 v19, v106 offset:15232                        // 000000008F8C: D81A3B80 00006A13
	v_mfma_f32_16x16x16_bf16 a[148:151], a[106:107], v[86:87], a[148:151]// 000000008F94: D3E18094 0E52AD6A
	v_mfma_f32_16x16x16_bf16 a[152:155], a[108:109], v[86:87], a[152:155]// 000000008F9C: D3E18098 0E62AD6C
	ds_write_b32 v19, v107 offset:16288                        // 000000008FA4: D81A3FA0 00006B13
	v_mfma_f32_16x16x16_bf16 a[156:159], a[110:111], v[86:87], a[156:159]// 000000008FAC: D3E1809C 0E72AD6E
	s_waitcnt vmcnt(4) lgkmcnt(4)                              // 000000008FB4: BF8C0474
	s_barrier                                                  // 000000008FB8: BF8A0000
	v_mfma_f32_16x16x16_bf16 v[148:151], a[24:25], v[52:53], 0 // 000000008FBC: D3E10094 0A026918
	ds_read_b128 a[96:99], v16                                 // 000000008FC4: DBFE0000 60000010
	buffer_load_dword v36, v1, s[8:11], 0 idxen                // 000000008FCC: E0502000 80022401
	v_mfma_f32_16x16x16_bf16 v[148:151], a[28:29], v[54:55], v[148:151]// 000000008FD4: D3E10094 0E526D1C
	v_mul_f32_e32 v140, s49, v140                              // 000000008FDC: 0B191831
	v_mul_f32_e32 v144, s49, v144                              // 000000008FE0: 0B212031
	s_nop 0                                                    // 000000008FE4: BF800000
	v_mfma_f32_16x16x16_bf16 v[148:151], a[32:33], v[56:57], v[148:151]// 000000008FE8: D3E10094 0E527120
	ds_read_b128 a[100:103], v16 offset:512                    // 000000008FF0: DBFE0200 64000010
	buffer_load_dword v37, v2, s[8:11], 0 idxen                // 000000008FF8: E0502000 80022502
	v_mfma_f32_16x16x16_bf16 v[148:151], a[36:37], v[58:59], v[148:151]// 000000009000: D3E10094 0E527524
	v_mfma_f32_16x16x16_bf16 v[148:151], a[40:41], v[60:61], v[148:151]// 000000009008: D3E10094 0E527928
	ds_read_b128 a[104:107], v16 offset:2176                   // 000000009010: DBFE0880 68000010
	buffer_load_dword v38, v3, s[8:11], 0 idxen                // 000000009018: E0502000 80022603
	v_mfma_f32_16x16x16_bf16 v[148:151], a[44:45], v[62:63], v[148:151]// 000000009020: D3E10094 0E527D2C
	v_perm_b32 v100, v41, v40, s63                             // 000000009028: D1ED0064 00FE5129
	v_perm_b32 v101, v41, v40, s64                             // 000000009030: D1ED0065 01025129
	v_mfma_f32_16x16x16_bf16 v[148:151], a[48:49], v[64:65], v[148:151]// 000000009038: D3E10094 0E528130
	ds_read_b128 a[108:111], v16 offset:2688                   // 000000009040: DBFE0A80 6C000010
	buffer_load_dword v39, v4, s[8:11], 0 idxen                // 000000009048: E0502000 80022704
	v_mfma_f32_16x16x16_bf16 v[148:151], a[52:53], v[66:67], v[148:151]// 000000009050: D3E10094 0E528534
	v_perm_b32 v102, v43, v42, s63                             // 000000009058: D1ED0066 00FE552B
	v_perm_b32 v103, v43, v42, s64                             // 000000009060: D1ED0067 0102552B
	v_mfma_f32_16x16x16_bf16 v[148:151], a[56:57], v[68:69], v[148:151]// 000000009068: D3E10094 0E528938
	ds_read_b128 v[108:111], v16 offset:8704                   // 000000009070: D9FE2200 6C000010
	buffer_load_dword v44, v1, s[20:23], 0 idxen               // 000000009078: E0502000 80052C01
	v_mfma_f32_16x16x16_bf16 v[148:151], a[60:61], v[70:71], v[148:151]// 000000009080: D3E10094 0E528D3C
	v_perm_b32 v104, v49, v48, s63                             // 000000009088: D1ED0068 00FE6131
	v_perm_b32 v105, v49, v48, s64                             // 000000009090: D1ED0069 01026131
	v_mfma_f32_16x16x16_bf16 v[148:151], a[64:65], v[72:73], v[148:151]// 000000009098: D3E10094 0E529140
	ds_read_b128 v[112:115], v16 offset:9216                   // 0000000090A0: D9FE2400 70000010
	buffer_load_dword v45, v2, s[20:23], 0 idxen               // 0000000090A8: E0502000 80052D02
	v_mfma_f32_16x16x16_bf16 v[148:151], a[68:69], v[74:75], v[148:151]// 0000000090B0: D3E10094 0E529544
	v_perm_b32 v106, v51, v50, s63                             // 0000000090B8: D1ED006A 00FE6533
	v_perm_b32 v107, v51, v50, s64                             // 0000000090C0: D1ED006B 01026533
	v_mfma_f32_16x16x16_bf16 v[152:155], a[26:27], v[52:53], 0 // 0000000090C8: D3E10098 0A02691A
	ds_read_b128 v[116:119], v16 offset:10880                  // 0000000090D0: D9FE2A80 74000010
	buffer_load_dword v46, v3, s[20:23], 0 idxen               // 0000000090D8: E0502000 80052E03
	v_mfma_f32_16x16x16_bf16 v[152:155], a[30:31], v[54:55], v[152:155]// 0000000090E0: D3E10098 0E626D1E
	v_mov_b32_dpp v143, v140 quad_perm:[3,3,3,3] row_mask:0xf bank_mask:0xf// 0000000090E8: 7F1E02FA FF00FF8C
	v_mov_b32_dpp v142, v140 quad_perm:[2,2,2,2] row_mask:0xf bank_mask:0xf// 0000000090F0: 7F1C02FA FF00AA8C
	v_mov_b32_dpp v141, v140 quad_perm:[1,1,1,1] row_mask:0xf bank_mask:0xf// 0000000090F8: 7F1A02FA FF00558C
	v_mov_b32_dpp v140, v140 quad_perm:[0,0,0,0] row_mask:0xf bank_mask:0xf// 000000009100: 7F1802FA FF00008C
	v_mfma_f32_16x16x16_bf16 v[152:155], a[34:35], v[56:57], v[152:155]// 000000009108: D3E10098 0E627122
	ds_read_b128 v[120:123], v16 offset:11392                  // 000000009110: D9FE2C80 78000010
	buffer_load_dword v47, v4, s[20:23], 0 idxen               // 000000009118: E0502000 80052F04
	v_mfma_f32_16x16x16_bf16 v[152:155], a[38:39], v[58:59], v[152:155]// 000000009120: D3E10098 0E627526
	v_mov_b32_dpp v147, v144 quad_perm:[3,3,3,3] row_mask:0xf bank_mask:0xf// 000000009128: 7F2602FA FF00FF90
	v_mov_b32_dpp v146, v144 quad_perm:[2,2,2,2] row_mask:0xf bank_mask:0xf// 000000009130: 7F2402FA FF00AA90
	v_mov_b32_dpp v145, v144 quad_perm:[1,1,1,1] row_mask:0xf bank_mask:0xf// 000000009138: 7F2202FA FF005590
	v_mov_b32_dpp v144, v144 quad_perm:[0,0,0,0] row_mask:0xf bank_mask:0xf// 000000009140: 7F2002FA FF000090
	s_add_u32 s60, 0x80, s59                                   // 000000009148: 803C3BFF 00000080
	v_mfma_f32_16x16x16_bf16 v[152:155], a[42:43], v[60:61], v[152:155]// 000000009150: D3E10098 0E62792A
	buffer_load_dword v15, s[24:27], 0 idxen lds               // 000000009158: E0512000 8006000F
	v_mfma_f32_16x16x16_bf16 v[152:155], a[46:47], v[62:63], v[152:155]// 000000009160: D3E10098 0E627D2E
	s_cmp_lt_u32 s60, s58                                      // 000000009168: BF0A3A3C
	s_cselect_b32 s68, s68, 0                                  // 00000000916C: 85448044
	s_cselect_b32 s69, s69, 0                                  // 000000009170: 85458045
	v_mfma_f32_16x16x16_bf16 v[152:155], a[50:51], v[64:65], v[152:155]// 000000009174: D3E10098 0E628132
	s_add_u32 s8, s68, s8                                      // 00000000917C: 80080844
	s_addc_u32 s9, 0, s9                                       // 000000009180: 82090980
	v_mfma_f32_16x16x16_bf16 v[152:155], a[54:55], v[66:67], v[152:155]// 000000009184: D3E10098 0E628536
	s_add_u32 s20, s68, s20                                    // 00000000918C: 80141444
	s_addc_u32 s21, 0, s21                                     // 000000009190: 82151580
	v_mfma_f32_16x16x16_bf16 v[152:155], a[58:59], v[68:69], v[152:155]// 000000009194: D3E10098 0E62893A
	s_mov_b32 m0, s81                                          // 00000000919C: BEFC0051
	v_add_u32_e32 v15, s69, v15                                // 0000000091A0: 681E1E45
	v_mfma_f32_16x16x16_bf16 v[152:155], a[62:63], v[70:71], v[152:155]// 0000000091A4: D3E10098 0E628D3E
	s_cmp_ge_u32 s59, s73                                      // 0000000091AC: BF09493B
	s_cselect_b32 s66, s67, s66                                // 0000000091B0: 85424243
	v_mfma_f32_16x16x16_bf16 v[152:155], a[66:67], v[72:73], v[152:155]// 0000000091B4: D3E10098 0E629142
	s_addk_i32 s59, 0x20                                       // 0000000091BC: B73B0020
	s_nop 0                                                    // 0000000091C0: BF800000
	s_cmp_lt_i32 s59, s58                                      // 0000000091C4: BF043A3B
	v_mfma_f32_16x16x16_bf16 v[152:155], a[70:71], v[74:75], v[152:155]// 0000000091C8: D3E10098 0E629546
	s_cbranch_scc0 label_0D14                                  // 0000000091D0: BF84F89F
	s_branch label_0D17                                        // 0000000091D4: BF82F8A1

00000000000091d8 <label_1476>:
	s_add_u32 s32, s66, s32                                    // 0000000091D8: 80202042
	s_addc_u32 s33, 0, s33                                     // 0000000091DC: 82212180
	v_lshrrev_b32_e32 v32, 5, v0                               // 0000000091E0: 20400085
	v_mul_i32_i24_e32 v31, 0x44, v32                           // 0000000091E4: 0C3E40FF 00000044
	v_and_b32_e32 v32, 31, v0                                  // 0000000091EC: 2640009F
	v_mul_i32_i24_e32 v33, 2, v32                              // 0000000091F0: 0C424082
	v_add_u32_e32 v31, v33, v31                                // 0000000091F4: 683E3F21
	s_mul_i32 s60, s47, 0x220                                  // 0000000091F8: 923CFF2F 00000220
	v_add_u32_e32 v31, s60, v31                                // 000000009200: 683E3E3C
	v_lshlrev_b32_e32 v31, 2, v31                              // 000000009204: 243E3E82
	v_mul_f32_e32 v148, s48, v148                              // 000000009208: 0B292830
	v_mul_f32_e32 v149, s48, v149                              // 00000000920C: 0B2B2A30
	v_mul_f32_e32 v150, s48, v150                              // 000000009210: 0B2D2C30
	v_mul_f32_e32 v151, s48, v151                              // 000000009214: 0B2F2E30
	v_mul_f32_e32 v152, s48, v152                              // 000000009218: 0B313030
	v_mul_f32_e32 v153, s48, v153                              // 00000000921C: 0B333230
	v_mul_f32_e32 v154, s48, v154                              // 000000009220: 0B353430
	v_mul_f32_e32 v155, s48, v155                              // 000000009224: 0B373630
	v_perm_b32 v148, v149, v148, s64                           // 000000009228: D1ED0094 01032995
	v_perm_b32 v149, v151, v150, s64                           // 000000009230: D1ED0095 01032D97
	v_perm_b32 v150, v153, v152, s64                           // 000000009238: D1ED0096 01033199
	v_perm_b32 v151, v155, v154, s64                           // 000000009240: D1ED0097 0103359B
	ds_write_b64 v26, v[148:149] offset:31232                  // 000000009248: D89A7A00 0000941A
	ds_write_b64 v26, v[150:151] offset:31776                  // 000000009250: D89A7C20 0000961A
	s_waitcnt lgkmcnt(0)                                       // 000000009258: BF8CC07F
	s_barrier                                                  // 00000000925C: BF8A0000
	ds_read_b32 v156, v25 offset:31232                         // 000000009260: D86C7A00 9C000019
	ds_read_b32 v157, v25 offset:31248                         // 000000009268: D86C7A10 9D000019
	ds_read_b32 v158, v25 offset:31264                         // 000000009270: D86C7A20 9E000019
	ds_read_b32 v159, v25 offset:31280                         // 000000009278: D86C7A30 9F000019
	s_waitcnt lgkmcnt(0)                                       // 000000009280: BF8CC07F
	s_barrier                                                  // 000000009284: BF8A0000
	global_atomic_pk_add_bf16 v6, v156, s[32:33]               // 000000009288: DD488000 00209C06
	global_atomic_pk_add_bf16 v8, v157, s[32:33]               // 000000009290: DD488000 00209D08
	global_atomic_pk_add_bf16 v10, v158, s[32:33]              // 000000009298: DD488000 00209E0A
	global_atomic_pk_add_bf16 v12, v159, s[32:33]              // 0000000092A0: DD488000 00209F0C
	v_lshrrev_b32_e32 v32, 3, v0                               // 0000000092A8: 20400083
	v_mul_i32_i24_e32 v30, 2, v32                              // 0000000092AC: 0C3C4082
	v_and_b32_e32 v32, 7, v0                                   // 0000000092B0: 26400087
	v_mul_i32_i24_e32 v33, 0x44, v32                           // 0000000092B4: 0C4240FF 00000044
	v_add_u32_e32 v30, v33, v30                                // 0000000092BC: 683C3D21
	s_mul_i32 s60, s47, 0x220                                  // 0000000092C0: 923CFF2F 00000220
	v_add_u32_e32 v30, s60, v30                                // 0000000092C8: 683C3C3C
	v_lshlrev_b32_e32 v30, 2, v30                              // 0000000092CC: 243C3C82
	v_accvgpr_read_b32 v34, a112                               // 0000000092D0: D3D84022 18000170
	v_accvgpr_read_b32 v35, a113                               // 0000000092D8: D3D84023 18000171
	v_mul_f32_e32 v34, s48, v34                                // 0000000092E0: 0A444430
	v_mul_f32_e32 v35, s48, v35                                // 0000000092E4: 0A464630
	v_cmp_u_f32_e64 s[78:79], v34, v34                         // 0000000092E8: D048004E 00024522
	v_bfe_u32 v228, v34, 16, 1                                 // 0000000092F0: D1C800E4 02052122
	v_add3_u32 v228, v34, v228, v231                           // 0000000092F8: D1FF00E4 079FC922
	v_cndmask_b32_e64 v32, v228, v230, s[78:79]                // 000000009300: D1000020 013BCDE4
	v_lshrrev_b32_e32 v32, 16, v32                             // 000000009308: 20404090
	v_cmp_u_f32_e64 s[78:79], v35, v35                         // 00000000930C: D048004E 00024723
	v_bfe_u32 v228, v35, 16, 1                                 // 000000009314: D1C800E4 02052123
	v_add3_u32 v228, v35, v228, v231                           // 00000000931C: D1FF00E4 079FC923
	v_cndmask_b32_e64 v33, v228, v230, s[78:79]                // 000000009324: D1000021 013BCDE4
	v_and_or_b32 v52, v33, v229, v32                           // 00000000932C: D2010034 0483CB21
	v_accvgpr_read_b32 v34, a114                               // 000000009334: D3D84022 18000172
	v_accvgpr_read_b32 v35, a115                               // 00000000933C: D3D84023 18000173
	v_mul_f32_e32 v34, s48, v34                                // 000000009344: 0A444430
	v_mul_f32_e32 v35, s48, v35                                // 000000009348: 0A464630
	v_cmp_u_f32_e64 s[78:79], v34, v34                         // 00000000934C: D048004E 00024522
	v_bfe_u32 v228, v34, 16, 1                                 // 000000009354: D1C800E4 02052122
	v_add3_u32 v228, v34, v228, v231                           // 00000000935C: D1FF00E4 079FC922
	v_cndmask_b32_e64 v32, v228, v230, s[78:79]                // 000000009364: D1000020 013BCDE4
	v_lshrrev_b32_e32 v32, 16, v32                             // 00000000936C: 20404090
	v_cmp_u_f32_e64 s[78:79], v35, v35                         // 000000009370: D048004E 00024723
	v_bfe_u32 v228, v35, 16, 1                                 // 000000009378: D1C800E4 02052123
	v_add3_u32 v228, v35, v228, v231                           // 000000009380: D1FF00E4 079FC923
	v_cndmask_b32_e64 v33, v228, v230, s[78:79]                // 000000009388: D1000021 013BCDE4
	v_and_or_b32 v53, v33, v229, v32                           // 000000009390: D2010035 0483CB21
	v_accvgpr_read_b32 v34, a116                               // 000000009398: D3D84022 18000174
	v_accvgpr_read_b32 v35, a117                               // 0000000093A0: D3D84023 18000175
	v_mul_f32_e32 v34, s48, v34                                // 0000000093A8: 0A444430
	v_mul_f32_e32 v35, s48, v35                                // 0000000093AC: 0A464630
	v_cmp_u_f32_e64 s[78:79], v34, v34                         // 0000000093B0: D048004E 00024522
	v_bfe_u32 v228, v34, 16, 1                                 // 0000000093B8: D1C800E4 02052122
	v_add3_u32 v228, v34, v228, v231                           // 0000000093C0: D1FF00E4 079FC922
	v_cndmask_b32_e64 v32, v228, v230, s[78:79]                // 0000000093C8: D1000020 013BCDE4
	v_lshrrev_b32_e32 v32, 16, v32                             // 0000000093D0: 20404090
	v_cmp_u_f32_e64 s[78:79], v35, v35                         // 0000000093D4: D048004E 00024723
	v_bfe_u32 v228, v35, 16, 1                                 // 0000000093DC: D1C800E4 02052123
	v_add3_u32 v228, v35, v228, v231                           // 0000000093E4: D1FF00E4 079FC923
	v_cndmask_b32_e64 v33, v228, v230, s[78:79]                // 0000000093EC: D1000021 013BCDE4
	v_and_or_b32 v54, v33, v229, v32                           // 0000000093F4: D2010036 0483CB21
	v_accvgpr_read_b32 v34, a118                               // 0000000093FC: D3D84022 18000176
	v_accvgpr_read_b32 v35, a119                               // 000000009404: D3D84023 18000177
	v_mul_f32_e32 v34, s48, v34                                // 00000000940C: 0A444430
	v_mul_f32_e32 v35, s48, v35                                // 000000009410: 0A464630
	v_cmp_u_f32_e64 s[78:79], v34, v34                         // 000000009414: D048004E 00024522
	v_bfe_u32 v228, v34, 16, 1                                 // 00000000941C: D1C800E4 02052122
	v_add3_u32 v228, v34, v228, v231                           // 000000009424: D1FF00E4 079FC922
	v_cndmask_b32_e64 v32, v228, v230, s[78:79]                // 00000000942C: D1000020 013BCDE4
	v_lshrrev_b32_e32 v32, 16, v32                             // 000000009434: 20404090
	v_cmp_u_f32_e64 s[78:79], v35, v35                         // 000000009438: D048004E 00024723
	v_bfe_u32 v228, v35, 16, 1                                 // 000000009440: D1C800E4 02052123
	v_add3_u32 v228, v35, v228, v231                           // 000000009448: D1FF00E4 079FC923
	v_cndmask_b32_e64 v33, v228, v230, s[78:79]                // 000000009450: D1000021 013BCDE4
	v_and_or_b32 v55, v33, v229, v32                           // 000000009458: D2010037 0483CB21
	v_accvgpr_read_b32 v34, a120                               // 000000009460: D3D84022 18000178
	v_accvgpr_read_b32 v35, a121                               // 000000009468: D3D84023 18000179
	v_mul_f32_e32 v34, s48, v34                                // 000000009470: 0A444430
	v_mul_f32_e32 v35, s48, v35                                // 000000009474: 0A464630
	v_cmp_u_f32_e64 s[78:79], v34, v34                         // 000000009478: D048004E 00024522
	v_bfe_u32 v228, v34, 16, 1                                 // 000000009480: D1C800E4 02052122
	v_add3_u32 v228, v34, v228, v231                           // 000000009488: D1FF00E4 079FC922
	v_cndmask_b32_e64 v32, v228, v230, s[78:79]                // 000000009490: D1000020 013BCDE4
	v_lshrrev_b32_e32 v32, 16, v32                             // 000000009498: 20404090
	v_cmp_u_f32_e64 s[78:79], v35, v35                         // 00000000949C: D048004E 00024723
	v_bfe_u32 v228, v35, 16, 1                                 // 0000000094A4: D1C800E4 02052123
	v_add3_u32 v228, v35, v228, v231                           // 0000000094AC: D1FF00E4 079FC923
	v_cndmask_b32_e64 v33, v228, v230, s[78:79]                // 0000000094B4: D1000021 013BCDE4
	v_and_or_b32 v56, v33, v229, v32                           // 0000000094BC: D2010038 0483CB21
	v_accvgpr_read_b32 v34, a122                               // 0000000094C4: D3D84022 1800017A
	v_accvgpr_read_b32 v35, a123                               // 0000000094CC: D3D84023 1800017B
	v_mul_f32_e32 v34, s48, v34                                // 0000000094D4: 0A444430
	v_mul_f32_e32 v35, s48, v35                                // 0000000094D8: 0A464630
	v_cmp_u_f32_e64 s[78:79], v34, v34                         // 0000000094DC: D048004E 00024522
	v_bfe_u32 v228, v34, 16, 1                                 // 0000000094E4: D1C800E4 02052122
	v_add3_u32 v228, v34, v228, v231                           // 0000000094EC: D1FF00E4 079FC922
	v_cndmask_b32_e64 v32, v228, v230, s[78:79]                // 0000000094F4: D1000020 013BCDE4
	v_lshrrev_b32_e32 v32, 16, v32                             // 0000000094FC: 20404090
	v_cmp_u_f32_e64 s[78:79], v35, v35                         // 000000009500: D048004E 00024723
	v_bfe_u32 v228, v35, 16, 1                                 // 000000009508: D1C800E4 02052123
	v_add3_u32 v228, v35, v228, v231                           // 000000009510: D1FF00E4 079FC923
	v_cndmask_b32_e64 v33, v228, v230, s[78:79]                // 000000009518: D1000021 013BCDE4
	v_and_or_b32 v57, v33, v229, v32                           // 000000009520: D2010039 0483CB21
	v_accvgpr_read_b32 v34, a124                               // 000000009528: D3D84022 1800017C
	v_accvgpr_read_b32 v35, a125                               // 000000009530: D3D84023 1800017D
	v_mul_f32_e32 v34, s48, v34                                // 000000009538: 0A444430
	v_mul_f32_e32 v35, s48, v35                                // 00000000953C: 0A464630
	v_cmp_u_f32_e64 s[78:79], v34, v34                         // 000000009540: D048004E 00024522
	v_bfe_u32 v228, v34, 16, 1                                 // 000000009548: D1C800E4 02052122
	v_add3_u32 v228, v34, v228, v231                           // 000000009550: D1FF00E4 079FC922
	v_cndmask_b32_e64 v32, v228, v230, s[78:79]                // 000000009558: D1000020 013BCDE4
	v_lshrrev_b32_e32 v32, 16, v32                             // 000000009560: 20404090
	v_cmp_u_f32_e64 s[78:79], v35, v35                         // 000000009564: D048004E 00024723
	v_bfe_u32 v228, v35, 16, 1                                 // 00000000956C: D1C800E4 02052123
	v_add3_u32 v228, v35, v228, v231                           // 000000009574: D1FF00E4 079FC923
	v_cndmask_b32_e64 v33, v228, v230, s[78:79]                // 00000000957C: D1000021 013BCDE4
	v_and_or_b32 v58, v33, v229, v32                           // 000000009584: D201003A 0483CB21
	v_accvgpr_read_b32 v34, a126                               // 00000000958C: D3D84022 1800017E
	v_accvgpr_read_b32 v35, a127                               // 000000009594: D3D84023 1800017F
	v_mul_f32_e32 v34, s48, v34                                // 00000000959C: 0A444430
	v_mul_f32_e32 v35, s48, v35                                // 0000000095A0: 0A464630
	v_cmp_u_f32_e64 s[78:79], v34, v34                         // 0000000095A4: D048004E 00024522
	v_bfe_u32 v228, v34, 16, 1                                 // 0000000095AC: D1C800E4 02052122
	v_add3_u32 v228, v34, v228, v231                           // 0000000095B4: D1FF00E4 079FC922
	v_cndmask_b32_e64 v32, v228, v230, s[78:79]                // 0000000095BC: D1000020 013BCDE4
	v_lshrrev_b32_e32 v32, 16, v32                             // 0000000095C4: 20404090
	v_cmp_u_f32_e64 s[78:79], v35, v35                         // 0000000095C8: D048004E 00024723
	v_bfe_u32 v228, v35, 16, 1                                 // 0000000095D0: D1C800E4 02052123
	v_add3_u32 v228, v35, v228, v231                           // 0000000095D8: D1FF00E4 079FC923
	v_cndmask_b32_e64 v33, v228, v230, s[78:79]                // 0000000095E0: D1000021 013BCDE4
	v_and_or_b32 v59, v33, v229, v32                           // 0000000095E8: D201003B 0483CB21
	ds_write_b64 v31, v[52:53]                                 // 0000000095F0: D89A0000 0000341F
	ds_write_b64 v31, v[54:55] offset:544                      // 0000000095F8: D89A0220 0000361F
	ds_write_b64 v31, v[56:57] offset:1088                     // 000000009600: D89A0440 0000381F
	ds_write_b64 v31, v[58:59] offset:1632                     // 000000009608: D89A0660 00003A1F
	s_waitcnt lgkmcnt(0)                                       // 000000009610: BF8CC07F
	s_barrier                                                  // 000000009614: BF8A0000
	ds_read_b64 v[52:53], v30                                  // 000000009618: D8EC0000 3400001E
	ds_read_b64 v[54:55], v30 offset:128                       // 000000009620: D8EC0080 3600001E
	ds_read_b64 v[56:57], v30 offset:64                        // 000000009628: D8EC0040 3800001E
	ds_read_b64 v[58:59], v30 offset:192                       // 000000009630: D8EC00C0 3A00001E
	s_waitcnt lgkmcnt(0)                                       // 000000009638: BF8CC07F
	buffer_store_dwordx4 v[52:55], v5, s[36:39], 0 idxen       // 00000000963C: E07C2000 80093405
	s_mul_i32 s60, 2, s46                                      // 000000009644: 923C2E82
	v_add_u32_e32 v5, s60, v5                                  // 000000009648: 680A0A3C
	buffer_store_dwordx4 v[56:59], v5, s[36:39], 0 idxen       // 00000000964C: E07C2000 80093805
	s_mul_i32 s60, 2, s46                                      // 000000009654: 923C2E82
	v_add_u32_e32 v5, s60, v5                                  // 000000009658: 680A0A3C
	s_mul_i32 s60, 12, s46                                     // 00000000965C: 923C2E8C
	v_add_u32_e32 v5, s60, v5                                  // 000000009660: 680A0A3C
	s_barrier                                                  // 000000009664: BF8A0000
	s_cmp_ge_i32 1, s72                                        // 000000009668: BF034881
	s_cbranch_scc1 label_176C                                  // 00000000966C: BF8501D0
	v_accvgpr_read_b32 v34, a128                               // 000000009670: D3D84022 18000180
	v_accvgpr_read_b32 v35, a129                               // 000000009678: D3D84023 18000181
	v_mul_f32_e32 v34, s48, v34                                // 000000009680: 0A444430
	v_mul_f32_e32 v35, s48, v35                                // 000000009684: 0A464630
	v_cmp_u_f32_e64 s[78:79], v34, v34                         // 000000009688: D048004E 00024522
	v_bfe_u32 v228, v34, 16, 1                                 // 000000009690: D1C800E4 02052122
	v_add3_u32 v228, v34, v228, v231                           // 000000009698: D1FF00E4 079FC922
	v_cndmask_b32_e64 v32, v228, v230, s[78:79]                // 0000000096A0: D1000020 013BCDE4
	v_lshrrev_b32_e32 v32, 16, v32                             // 0000000096A8: 20404090
	v_cmp_u_f32_e64 s[78:79], v35, v35                         // 0000000096AC: D048004E 00024723
	v_bfe_u32 v228, v35, 16, 1                                 // 0000000096B4: D1C800E4 02052123
	v_add3_u32 v228, v35, v228, v231                           // 0000000096BC: D1FF00E4 079FC923
	v_cndmask_b32_e64 v33, v228, v230, s[78:79]                // 0000000096C4: D1000021 013BCDE4
	v_and_or_b32 v60, v33, v229, v32                           // 0000000096CC: D201003C 0483CB21
	v_accvgpr_read_b32 v34, a130                               // 0000000096D4: D3D84022 18000182
	v_accvgpr_read_b32 v35, a131                               // 0000000096DC: D3D84023 18000183
	v_mul_f32_e32 v34, s48, v34                                // 0000000096E4: 0A444430
	v_mul_f32_e32 v35, s48, v35                                // 0000000096E8: 0A464630
	v_cmp_u_f32_e64 s[78:79], v34, v34                         // 0000000096EC: D048004E 00024522
	v_bfe_u32 v228, v34, 16, 1                                 // 0000000096F4: D1C800E4 02052122
	v_add3_u32 v228, v34, v228, v231                           // 0000000096FC: D1FF00E4 079FC922
	v_cndmask_b32_e64 v32, v228, v230, s[78:79]                // 000000009704: D1000020 013BCDE4
	v_lshrrev_b32_e32 v32, 16, v32                             // 00000000970C: 20404090
	v_cmp_u_f32_e64 s[78:79], v35, v35                         // 000000009710: D048004E 00024723
	v_bfe_u32 v228, v35, 16, 1                                 // 000000009718: D1C800E4 02052123
	v_add3_u32 v228, v35, v228, v231                           // 000000009720: D1FF00E4 079FC923
	v_cndmask_b32_e64 v33, v228, v230, s[78:79]                // 000000009728: D1000021 013BCDE4
	v_and_or_b32 v61, v33, v229, v32                           // 000000009730: D201003D 0483CB21
	v_accvgpr_read_b32 v34, a132                               // 000000009738: D3D84022 18000184
	v_accvgpr_read_b32 v35, a133                               // 000000009740: D3D84023 18000185
	v_mul_f32_e32 v34, s48, v34                                // 000000009748: 0A444430
	v_mul_f32_e32 v35, s48, v35                                // 00000000974C: 0A464630
	v_cmp_u_f32_e64 s[78:79], v34, v34                         // 000000009750: D048004E 00024522
	v_bfe_u32 v228, v34, 16, 1                                 // 000000009758: D1C800E4 02052122
	v_add3_u32 v228, v34, v228, v231                           // 000000009760: D1FF00E4 079FC922
	v_cndmask_b32_e64 v32, v228, v230, s[78:79]                // 000000009768: D1000020 013BCDE4
	v_lshrrev_b32_e32 v32, 16, v32                             // 000000009770: 20404090
	v_cmp_u_f32_e64 s[78:79], v35, v35                         // 000000009774: D048004E 00024723
	v_bfe_u32 v228, v35, 16, 1                                 // 00000000977C: D1C800E4 02052123
	v_add3_u32 v228, v35, v228, v231                           // 000000009784: D1FF00E4 079FC923
	v_cndmask_b32_e64 v33, v228, v230, s[78:79]                // 00000000978C: D1000021 013BCDE4
	v_and_or_b32 v62, v33, v229, v32                           // 000000009794: D201003E 0483CB21
	v_accvgpr_read_b32 v34, a134                               // 00000000979C: D3D84022 18000186
	v_accvgpr_read_b32 v35, a135                               // 0000000097A4: D3D84023 18000187
	v_mul_f32_e32 v34, s48, v34                                // 0000000097AC: 0A444430
	v_mul_f32_e32 v35, s48, v35                                // 0000000097B0: 0A464630
	v_cmp_u_f32_e64 s[78:79], v34, v34                         // 0000000097B4: D048004E 00024522
	v_bfe_u32 v228, v34, 16, 1                                 // 0000000097BC: D1C800E4 02052122
	v_add3_u32 v228, v34, v228, v231                           // 0000000097C4: D1FF00E4 079FC922
	v_cndmask_b32_e64 v32, v228, v230, s[78:79]                // 0000000097CC: D1000020 013BCDE4
	v_lshrrev_b32_e32 v32, 16, v32                             // 0000000097D4: 20404090
	v_cmp_u_f32_e64 s[78:79], v35, v35                         // 0000000097D8: D048004E 00024723
	v_bfe_u32 v228, v35, 16, 1                                 // 0000000097E0: D1C800E4 02052123
	v_add3_u32 v228, v35, v228, v231                           // 0000000097E8: D1FF00E4 079FC923
	v_cndmask_b32_e64 v33, v228, v230, s[78:79]                // 0000000097F0: D1000021 013BCDE4
	v_and_or_b32 v63, v33, v229, v32                           // 0000000097F8: D201003F 0483CB21
	v_accvgpr_read_b32 v34, a136                               // 000000009800: D3D84022 18000188
	v_accvgpr_read_b32 v35, a137                               // 000000009808: D3D84023 18000189
	v_mul_f32_e32 v34, s48, v34                                // 000000009810: 0A444430
	v_mul_f32_e32 v35, s48, v35                                // 000000009814: 0A464630
	v_cmp_u_f32_e64 s[78:79], v34, v34                         // 000000009818: D048004E 00024522
	v_bfe_u32 v228, v34, 16, 1                                 // 000000009820: D1C800E4 02052122
	v_add3_u32 v228, v34, v228, v231                           // 000000009828: D1FF00E4 079FC922
	v_cndmask_b32_e64 v32, v228, v230, s[78:79]                // 000000009830: D1000020 013BCDE4
	v_lshrrev_b32_e32 v32, 16, v32                             // 000000009838: 20404090
	v_cmp_u_f32_e64 s[78:79], v35, v35                         // 00000000983C: D048004E 00024723
	v_bfe_u32 v228, v35, 16, 1                                 // 000000009844: D1C800E4 02052123
	v_add3_u32 v228, v35, v228, v231                           // 00000000984C: D1FF00E4 079FC923
	v_cndmask_b32_e64 v33, v228, v230, s[78:79]                // 000000009854: D1000021 013BCDE4
	v_and_or_b32 v64, v33, v229, v32                           // 00000000985C: D2010040 0483CB21
	v_accvgpr_read_b32 v34, a138                               // 000000009864: D3D84022 1800018A
	v_accvgpr_read_b32 v35, a139                               // 00000000986C: D3D84023 1800018B
	v_mul_f32_e32 v34, s48, v34                                // 000000009874: 0A444430
	v_mul_f32_e32 v35, s48, v35                                // 000000009878: 0A464630
	v_cmp_u_f32_e64 s[78:79], v34, v34                         // 00000000987C: D048004E 00024522
	v_bfe_u32 v228, v34, 16, 1                                 // 000000009884: D1C800E4 02052122
	v_add3_u32 v228, v34, v228, v231                           // 00000000988C: D1FF00E4 079FC922
	v_cndmask_b32_e64 v32, v228, v230, s[78:79]                // 000000009894: D1000020 013BCDE4
	v_lshrrev_b32_e32 v32, 16, v32                             // 00000000989C: 20404090
	v_cmp_u_f32_e64 s[78:79], v35, v35                         // 0000000098A0: D048004E 00024723
	v_bfe_u32 v228, v35, 16, 1                                 // 0000000098A8: D1C800E4 02052123
	v_add3_u32 v228, v35, v228, v231                           // 0000000098B0: D1FF00E4 079FC923
	v_cndmask_b32_e64 v33, v228, v230, s[78:79]                // 0000000098B8: D1000021 013BCDE4
	v_and_or_b32 v65, v33, v229, v32                           // 0000000098C0: D2010041 0483CB21
	v_accvgpr_read_b32 v34, a140                               // 0000000098C8: D3D84022 1800018C
	v_accvgpr_read_b32 v35, a141                               // 0000000098D0: D3D84023 1800018D
	v_mul_f32_e32 v34, s48, v34                                // 0000000098D8: 0A444430
	v_mul_f32_e32 v35, s48, v35                                // 0000000098DC: 0A464630
	v_cmp_u_f32_e64 s[78:79], v34, v34                         // 0000000098E0: D048004E 00024522
	v_bfe_u32 v228, v34, 16, 1                                 // 0000000098E8: D1C800E4 02052122
	v_add3_u32 v228, v34, v228, v231                           // 0000000098F0: D1FF00E4 079FC922
	v_cndmask_b32_e64 v32, v228, v230, s[78:79]                // 0000000098F8: D1000020 013BCDE4
	v_lshrrev_b32_e32 v32, 16, v32                             // 000000009900: 20404090
	v_cmp_u_f32_e64 s[78:79], v35, v35                         // 000000009904: D048004E 00024723
	v_bfe_u32 v228, v35, 16, 1                                 // 00000000990C: D1C800E4 02052123
	v_add3_u32 v228, v35, v228, v231                           // 000000009914: D1FF00E4 079FC923
	v_cndmask_b32_e64 v33, v228, v230, s[78:79]                // 00000000991C: D1000021 013BCDE4
	v_and_or_b32 v66, v33, v229, v32                           // 000000009924: D2010042 0483CB21
	v_accvgpr_read_b32 v34, a142                               // 00000000992C: D3D84022 1800018E
	v_accvgpr_read_b32 v35, a143                               // 000000009934: D3D84023 1800018F
	v_mul_f32_e32 v34, s48, v34                                // 00000000993C: 0A444430
	v_mul_f32_e32 v35, s48, v35                                // 000000009940: 0A464630
	v_cmp_u_f32_e64 s[78:79], v34, v34                         // 000000009944: D048004E 00024522
	v_bfe_u32 v228, v34, 16, 1                                 // 00000000994C: D1C800E4 02052122
	v_add3_u32 v228, v34, v228, v231                           // 000000009954: D1FF00E4 079FC922
	v_cndmask_b32_e64 v32, v228, v230, s[78:79]                // 00000000995C: D1000020 013BCDE4
	v_lshrrev_b32_e32 v32, 16, v32                             // 000000009964: 20404090
	v_cmp_u_f32_e64 s[78:79], v35, v35                         // 000000009968: D048004E 00024723
	v_bfe_u32 v228, v35, 16, 1                                 // 000000009970: D1C800E4 02052123
	v_add3_u32 v228, v35, v228, v231                           // 000000009978: D1FF00E4 079FC923
	v_cndmask_b32_e64 v33, v228, v230, s[78:79]                // 000000009980: D1000021 013BCDE4
	v_and_or_b32 v67, v33, v229, v32                           // 000000009988: D2010043 0483CB21
	ds_write_b64 v31, v[60:61] offset:8704                     // 000000009990: D89A2200 00003C1F
	ds_write_b64 v31, v[62:63] offset:9248                     // 000000009998: D89A2420 00003E1F
	ds_write_b64 v31, v[64:65] offset:9792                     // 0000000099A0: D89A2640 0000401F
	ds_write_b64 v31, v[66:67] offset:10336                    // 0000000099A8: D89A2860 0000421F
	s_waitcnt lgkmcnt(0)                                       // 0000000099B0: BF8CC07F
	s_barrier                                                  // 0000000099B4: BF8A0000
	ds_read_b64 v[60:61], v30 offset:8704                      // 0000000099B8: D8EC2200 3C00001E
	ds_read_b64 v[62:63], v30 offset:8832                      // 0000000099C0: D8EC2280 3E00001E
	ds_read_b64 v[64:65], v30 offset:8768                      // 0000000099C8: D8EC2240 4000001E
	ds_read_b64 v[66:67], v30 offset:8896                      // 0000000099D0: D8EC22C0 4200001E
	s_waitcnt lgkmcnt(0)                                       // 0000000099D8: BF8CC07F
	buffer_store_dwordx4 v[60:63], v5, s[36:39], 0 idxen       // 0000000099DC: E07C2000 80093C05
	s_mul_i32 s60, 2, s46                                      // 0000000099E4: 923C2E82
	v_add_u32_e32 v5, s60, v5                                  // 0000000099E8: 680A0A3C
	buffer_store_dwordx4 v[64:67], v5, s[36:39], 0 idxen       // 0000000099EC: E07C2000 80094005
	s_mul_i32 s60, 2, s46                                      // 0000000099F4: 923C2E82
	v_add_u32_e32 v5, s60, v5                                  // 0000000099F8: 680A0A3C
	s_mul_i32 s60, 12, s46                                     // 0000000099FC: 923C2E8C
	v_add_u32_e32 v5, s60, v5                                  // 000000009A00: 680A0A3C
	s_barrier                                                  // 000000009A04: BF8A0000
	s_cmp_ge_i32 2, s72                                        // 000000009A08: BF034882
	s_cbranch_scc1 label_176C                                  // 000000009A0C: BF8500E8
	v_accvgpr_read_b32 v34, a144                               // 000000009A10: D3D84022 18000190
	v_accvgpr_read_b32 v35, a145                               // 000000009A18: D3D84023 18000191
	v_mul_f32_e32 v34, s48, v34                                // 000000009A20: 0A444430
	v_mul_f32_e32 v35, s48, v35                                // 000000009A24: 0A464630
	v_cmp_u_f32_e64 s[78:79], v34, v34                         // 000000009A28: D048004E 00024522
	v_bfe_u32 v228, v34, 16, 1                                 // 000000009A30: D1C800E4 02052122
	v_add3_u32 v228, v34, v228, v231                           // 000000009A38: D1FF00E4 079FC922
	v_cndmask_b32_e64 v32, v228, v230, s[78:79]                // 000000009A40: D1000020 013BCDE4
	v_lshrrev_b32_e32 v32, 16, v32                             // 000000009A48: 20404090
	v_cmp_u_f32_e64 s[78:79], v35, v35                         // 000000009A4C: D048004E 00024723
	v_bfe_u32 v228, v35, 16, 1                                 // 000000009A54: D1C800E4 02052123
	v_add3_u32 v228, v35, v228, v231                           // 000000009A5C: D1FF00E4 079FC923
	v_cndmask_b32_e64 v33, v228, v230, s[78:79]                // 000000009A64: D1000021 013BCDE4
	v_and_or_b32 v68, v33, v229, v32                           // 000000009A6C: D2010044 0483CB21
	v_accvgpr_read_b32 v34, a146                               // 000000009A74: D3D84022 18000192
	v_accvgpr_read_b32 v35, a147                               // 000000009A7C: D3D84023 18000193
	v_mul_f32_e32 v34, s48, v34                                // 000000009A84: 0A444430
	v_mul_f32_e32 v35, s48, v35                                // 000000009A88: 0A464630
	v_cmp_u_f32_e64 s[78:79], v34, v34                         // 000000009A8C: D048004E 00024522
	v_bfe_u32 v228, v34, 16, 1                                 // 000000009A94: D1C800E4 02052122
	v_add3_u32 v228, v34, v228, v231                           // 000000009A9C: D1FF00E4 079FC922
	v_cndmask_b32_e64 v32, v228, v230, s[78:79]                // 000000009AA4: D1000020 013BCDE4
	v_lshrrev_b32_e32 v32, 16, v32                             // 000000009AAC: 20404090
	v_cmp_u_f32_e64 s[78:79], v35, v35                         // 000000009AB0: D048004E 00024723
	v_bfe_u32 v228, v35, 16, 1                                 // 000000009AB8: D1C800E4 02052123
	v_add3_u32 v228, v35, v228, v231                           // 000000009AC0: D1FF00E4 079FC923
	v_cndmask_b32_e64 v33, v228, v230, s[78:79]                // 000000009AC8: D1000021 013BCDE4
	v_and_or_b32 v69, v33, v229, v32                           // 000000009AD0: D2010045 0483CB21
	v_accvgpr_read_b32 v34, a148                               // 000000009AD8: D3D84022 18000194
	v_accvgpr_read_b32 v35, a149                               // 000000009AE0: D3D84023 18000195
	v_mul_f32_e32 v34, s48, v34                                // 000000009AE8: 0A444430
	v_mul_f32_e32 v35, s48, v35                                // 000000009AEC: 0A464630
	v_cmp_u_f32_e64 s[78:79], v34, v34                         // 000000009AF0: D048004E 00024522
	v_bfe_u32 v228, v34, 16, 1                                 // 000000009AF8: D1C800E4 02052122
	v_add3_u32 v228, v34, v228, v231                           // 000000009B00: D1FF00E4 079FC922
	v_cndmask_b32_e64 v32, v228, v230, s[78:79]                // 000000009B08: D1000020 013BCDE4
	v_lshrrev_b32_e32 v32, 16, v32                             // 000000009B10: 20404090
	v_cmp_u_f32_e64 s[78:79], v35, v35                         // 000000009B14: D048004E 00024723
	v_bfe_u32 v228, v35, 16, 1                                 // 000000009B1C: D1C800E4 02052123
	v_add3_u32 v228, v35, v228, v231                           // 000000009B24: D1FF00E4 079FC923
	v_cndmask_b32_e64 v33, v228, v230, s[78:79]                // 000000009B2C: D1000021 013BCDE4
	v_and_or_b32 v70, v33, v229, v32                           // 000000009B34: D2010046 0483CB21
	v_accvgpr_read_b32 v34, a150                               // 000000009B3C: D3D84022 18000196
	v_accvgpr_read_b32 v35, a151                               // 000000009B44: D3D84023 18000197
	v_mul_f32_e32 v34, s48, v34                                // 000000009B4C: 0A444430
	v_mul_f32_e32 v35, s48, v35                                // 000000009B50: 0A464630
	v_cmp_u_f32_e64 s[78:79], v34, v34                         // 000000009B54: D048004E 00024522
	v_bfe_u32 v228, v34, 16, 1                                 // 000000009B5C: D1C800E4 02052122
	v_add3_u32 v228, v34, v228, v231                           // 000000009B64: D1FF00E4 079FC922
	v_cndmask_b32_e64 v32, v228, v230, s[78:79]                // 000000009B6C: D1000020 013BCDE4
	v_lshrrev_b32_e32 v32, 16, v32                             // 000000009B74: 20404090
	v_cmp_u_f32_e64 s[78:79], v35, v35                         // 000000009B78: D048004E 00024723
	v_bfe_u32 v228, v35, 16, 1                                 // 000000009B80: D1C800E4 02052123
	v_add3_u32 v228, v35, v228, v231                           // 000000009B88: D1FF00E4 079FC923
	v_cndmask_b32_e64 v33, v228, v230, s[78:79]                // 000000009B90: D1000021 013BCDE4
	v_and_or_b32 v71, v33, v229, v32                           // 000000009B98: D2010047 0483CB21
	v_accvgpr_read_b32 v34, a152                               // 000000009BA0: D3D84022 18000198
	v_accvgpr_read_b32 v35, a153                               // 000000009BA8: D3D84023 18000199
	v_mul_f32_e32 v34, s48, v34                                // 000000009BB0: 0A444430
	v_mul_f32_e32 v35, s48, v35                                // 000000009BB4: 0A464630
	v_cmp_u_f32_e64 s[78:79], v34, v34                         // 000000009BB8: D048004E 00024522
	v_bfe_u32 v228, v34, 16, 1                                 // 000000009BC0: D1C800E4 02052122
	v_add3_u32 v228, v34, v228, v231                           // 000000009BC8: D1FF00E4 079FC922
	v_cndmask_b32_e64 v32, v228, v230, s[78:79]                // 000000009BD0: D1000020 013BCDE4
	v_lshrrev_b32_e32 v32, 16, v32                             // 000000009BD8: 20404090
	v_cmp_u_f32_e64 s[78:79], v35, v35                         // 000000009BDC: D048004E 00024723
	v_bfe_u32 v228, v35, 16, 1                                 // 000000009BE4: D1C800E4 02052123
	v_add3_u32 v228, v35, v228, v231                           // 000000009BEC: D1FF00E4 079FC923
	v_cndmask_b32_e64 v33, v228, v230, s[78:79]                // 000000009BF4: D1000021 013BCDE4
	v_and_or_b32 v72, v33, v229, v32                           // 000000009BFC: D2010048 0483CB21
	v_accvgpr_read_b32 v34, a154                               // 000000009C04: D3D84022 1800019A
	v_accvgpr_read_b32 v35, a155                               // 000000009C0C: D3D84023 1800019B
	v_mul_f32_e32 v34, s48, v34                                // 000000009C14: 0A444430
	v_mul_f32_e32 v35, s48, v35                                // 000000009C18: 0A464630
	v_cmp_u_f32_e64 s[78:79], v34, v34                         // 000000009C1C: D048004E 00024522
	v_bfe_u32 v228, v34, 16, 1                                 // 000000009C24: D1C800E4 02052122
	v_add3_u32 v228, v34, v228, v231                           // 000000009C2C: D1FF00E4 079FC922
	v_cndmask_b32_e64 v32, v228, v230, s[78:79]                // 000000009C34: D1000020 013BCDE4
	v_lshrrev_b32_e32 v32, 16, v32                             // 000000009C3C: 20404090
	v_cmp_u_f32_e64 s[78:79], v35, v35                         // 000000009C40: D048004E 00024723
	v_bfe_u32 v228, v35, 16, 1                                 // 000000009C48: D1C800E4 02052123
	v_add3_u32 v228, v35, v228, v231                           // 000000009C50: D1FF00E4 079FC923
	v_cndmask_b32_e64 v33, v228, v230, s[78:79]                // 000000009C58: D1000021 013BCDE4
	v_and_or_b32 v73, v33, v229, v32                           // 000000009C60: D2010049 0483CB21
	v_accvgpr_read_b32 v34, a156                               // 000000009C68: D3D84022 1800019C
	v_accvgpr_read_b32 v35, a157                               // 000000009C70: D3D84023 1800019D
	v_mul_f32_e32 v34, s48, v34                                // 000000009C78: 0A444430
	v_mul_f32_e32 v35, s48, v35                                // 000000009C7C: 0A464630
	v_cmp_u_f32_e64 s[78:79], v34, v34                         // 000000009C80: D048004E 00024522
	v_bfe_u32 v228, v34, 16, 1                                 // 000000009C88: D1C800E4 02052122
	v_add3_u32 v228, v34, v228, v231                           // 000000009C90: D1FF00E4 079FC922
	v_cndmask_b32_e64 v32, v228, v230, s[78:79]                // 000000009C98: D1000020 013BCDE4
	v_lshrrev_b32_e32 v32, 16, v32                             // 000000009CA0: 20404090
	v_cmp_u_f32_e64 s[78:79], v35, v35                         // 000000009CA4: D048004E 00024723
	v_bfe_u32 v228, v35, 16, 1                                 // 000000009CAC: D1C800E4 02052123
	v_add3_u32 v228, v35, v228, v231                           // 000000009CB4: D1FF00E4 079FC923
	v_cndmask_b32_e64 v33, v228, v230, s[78:79]                // 000000009CBC: D1000021 013BCDE4
	v_and_or_b32 v74, v33, v229, v32                           // 000000009CC4: D201004A 0483CB21
	v_accvgpr_read_b32 v34, a158                               // 000000009CCC: D3D84022 1800019E
	v_accvgpr_read_b32 v35, a159                               // 000000009CD4: D3D84023 1800019F
	v_mul_f32_e32 v34, s48, v34                                // 000000009CDC: 0A444430
	v_mul_f32_e32 v35, s48, v35                                // 000000009CE0: 0A464630
	v_cmp_u_f32_e64 s[78:79], v34, v34                         // 000000009CE4: D048004E 00024522
	v_bfe_u32 v228, v34, 16, 1                                 // 000000009CEC: D1C800E4 02052122
	v_add3_u32 v228, v34, v228, v231                           // 000000009CF4: D1FF00E4 079FC922
	v_cndmask_b32_e64 v32, v228, v230, s[78:79]                // 000000009CFC: D1000020 013BCDE4
	v_lshrrev_b32_e32 v32, 16, v32                             // 000000009D04: 20404090
	v_cmp_u_f32_e64 s[78:79], v35, v35                         // 000000009D08: D048004E 00024723
	v_bfe_u32 v228, v35, 16, 1                                 // 000000009D10: D1C800E4 02052123
	v_add3_u32 v228, v35, v228, v231                           // 000000009D18: D1FF00E4 079FC923
	v_cndmask_b32_e64 v33, v228, v230, s[78:79]                // 000000009D20: D1000021 013BCDE4
	v_and_or_b32 v75, v33, v229, v32                           // 000000009D28: D201004B 0483CB21
	ds_write_b64 v31, v[68:69] offset:17408                    // 000000009D30: D89A4400 0000441F
	ds_write_b64 v31, v[70:71] offset:17952                    // 000000009D38: D89A4620 0000461F
	ds_write_b64 v31, v[72:73] offset:18496                    // 000000009D40: D89A4840 0000481F
	ds_write_b64 v31, v[74:75] offset:19040                    // 000000009D48: D89A4A60 00004A1F
	s_waitcnt lgkmcnt(0)                                       // 000000009D50: BF8CC07F
	s_barrier                                                  // 000000009D54: BF8A0000
	ds_read_b64 v[68:69], v30 offset:17408                     // 000000009D58: D8EC4400 4400001E
	ds_read_b64 v[70:71], v30 offset:17536                     // 000000009D60: D8EC4480 4600001E
	ds_read_b64 v[72:73], v30 offset:17472                     // 000000009D68: D8EC4440 4800001E
	ds_read_b64 v[74:75], v30 offset:17600                     // 000000009D70: D8EC44C0 4A00001E
	s_waitcnt lgkmcnt(0)                                       // 000000009D78: BF8CC07F
	buffer_store_dwordx4 v[68:71], v5, s[36:39], 0 idxen       // 000000009D7C: E07C2000 80094405
	s_mul_i32 s60, 2, s46                                      // 000000009D84: 923C2E82
	v_add_u32_e32 v5, s60, v5                                  // 000000009D88: 680A0A3C
	buffer_store_dwordx4 v[72:75], v5, s[36:39], 0 idxen       // 000000009D8C: E07C2000 80094805
	s_mul_i32 s60, 2, s46                                      // 000000009D94: 923C2E82
	v_add_u32_e32 v5, s60, v5                                  // 000000009D98: 680A0A3C
	s_mul_i32 s60, 12, s46                                     // 000000009D9C: 923C2E8C
	v_add_u32_e32 v5, s60, v5                                  // 000000009DA0: 680A0A3C
	s_barrier                                                  // 000000009DA4: BF8A0000
	s_cmp_ge_i32 3, s72                                        // 000000009DA8: BF034883
	s_cbranch_scc1 label_176C                                  // 000000009DAC: BF850000

0000000000009db0 <label_176C>:
	v_mov_b32_e32 v34, v180                                    // 000000009DB0: 7E4403B4
	v_mov_b32_e32 v35, v181                                    // 000000009DB4: 7E4603B5
	v_cmp_u_f32_e64 s[78:79], v34, v34                         // 000000009DB8: D048004E 00024522
	v_bfe_u32 v228, v34, 16, 1                                 // 000000009DC0: D1C800E4 02052122
	v_add3_u32 v228, v34, v228, v231                           // 000000009DC8: D1FF00E4 079FC922
	v_cndmask_b32_e64 v32, v228, v230, s[78:79]                // 000000009DD0: D1000020 013BCDE4
	v_lshrrev_b32_e32 v32, 16, v32                             // 000000009DD8: 20404090
	v_cmp_u_f32_e64 s[78:79], v35, v35                         // 000000009DDC: D048004E 00024723
	v_bfe_u32 v228, v35, 16, 1                                 // 000000009DE4: D1C800E4 02052123
	v_add3_u32 v228, v35, v228, v231                           // 000000009DEC: D1FF00E4 079FC923
	v_cndmask_b32_e64 v33, v228, v230, s[78:79]                // 000000009DF4: D1000021 013BCDE4
	v_and_or_b32 v180, v33, v229, v32                          // 000000009DFC: D20100B4 0483CB21
	v_mov_b32_e32 v34, v182                                    // 000000009E04: 7E4403B6
	v_mov_b32_e32 v35, v183                                    // 000000009E08: 7E4603B7
	v_cmp_u_f32_e64 s[78:79], v34, v34                         // 000000009E0C: D048004E 00024522
	v_bfe_u32 v228, v34, 16, 1                                 // 000000009E14: D1C800E4 02052122
	v_add3_u32 v228, v34, v228, v231                           // 000000009E1C: D1FF00E4 079FC922
	v_cndmask_b32_e64 v32, v228, v230, s[78:79]                // 000000009E24: D1000020 013BCDE4
	v_lshrrev_b32_e32 v32, 16, v32                             // 000000009E2C: 20404090
	v_cmp_u_f32_e64 s[78:79], v35, v35                         // 000000009E30: D048004E 00024723
	v_bfe_u32 v228, v35, 16, 1                                 // 000000009E38: D1C800E4 02052123
	v_add3_u32 v228, v35, v228, v231                           // 000000009E40: D1FF00E4 079FC923
	v_cndmask_b32_e64 v33, v228, v230, s[78:79]                // 000000009E48: D1000021 013BCDE4
	v_and_or_b32 v181, v33, v229, v32                          // 000000009E50: D20100B5 0483CB21
	v_mov_b32_e32 v34, v184                                    // 000000009E58: 7E4403B8
	v_mov_b32_e32 v35, v185                                    // 000000009E5C: 7E4603B9
	v_cmp_u_f32_e64 s[78:79], v34, v34                         // 000000009E60: D048004E 00024522
	v_bfe_u32 v228, v34, 16, 1                                 // 000000009E68: D1C800E4 02052122
	v_add3_u32 v228, v34, v228, v231                           // 000000009E70: D1FF00E4 079FC922
	v_cndmask_b32_e64 v32, v228, v230, s[78:79]                // 000000009E78: D1000020 013BCDE4
	v_lshrrev_b32_e32 v32, 16, v32                             // 000000009E80: 20404090
	v_cmp_u_f32_e64 s[78:79], v35, v35                         // 000000009E84: D048004E 00024723
	v_bfe_u32 v228, v35, 16, 1                                 // 000000009E8C: D1C800E4 02052123
	v_add3_u32 v228, v35, v228, v231                           // 000000009E94: D1FF00E4 079FC923
	v_cndmask_b32_e64 v33, v228, v230, s[78:79]                // 000000009E9C: D1000021 013BCDE4
	v_and_or_b32 v182, v33, v229, v32                          // 000000009EA4: D20100B6 0483CB21
	v_mov_b32_e32 v34, v186                                    // 000000009EAC: 7E4403BA
	v_mov_b32_e32 v35, v187                                    // 000000009EB0: 7E4603BB
	v_cmp_u_f32_e64 s[78:79], v34, v34                         // 000000009EB4: D048004E 00024522
	v_bfe_u32 v228, v34, 16, 1                                 // 000000009EBC: D1C800E4 02052122
	v_add3_u32 v228, v34, v228, v231                           // 000000009EC4: D1FF00E4 079FC922
	v_cndmask_b32_e64 v32, v228, v230, s[78:79]                // 000000009ECC: D1000020 013BCDE4
	v_lshrrev_b32_e32 v32, 16, v32                             // 000000009ED4: 20404090
	v_cmp_u_f32_e64 s[78:79], v35, v35                         // 000000009ED8: D048004E 00024723
	v_bfe_u32 v228, v35, 16, 1                                 // 000000009EE0: D1C800E4 02052123
	v_add3_u32 v228, v35, v228, v231                           // 000000009EE8: D1FF00E4 079FC923
	v_cndmask_b32_e64 v33, v228, v230, s[78:79]                // 000000009EF0: D1000021 013BCDE4
	v_and_or_b32 v183, v33, v229, v32                          // 000000009EF8: D20100B7 0483CB21
	v_mov_b32_e32 v34, v188                                    // 000000009F00: 7E4403BC
	v_mov_b32_e32 v35, v189                                    // 000000009F04: 7E4603BD
	v_cmp_u_f32_e64 s[78:79], v34, v34                         // 000000009F08: D048004E 00024522
	v_bfe_u32 v228, v34, 16, 1                                 // 000000009F10: D1C800E4 02052122
	v_add3_u32 v228, v34, v228, v231                           // 000000009F18: D1FF00E4 079FC922
	v_cndmask_b32_e64 v32, v228, v230, s[78:79]                // 000000009F20: D1000020 013BCDE4
	v_lshrrev_b32_e32 v32, 16, v32                             // 000000009F28: 20404090
	v_cmp_u_f32_e64 s[78:79], v35, v35                         // 000000009F2C: D048004E 00024723
	v_bfe_u32 v228, v35, 16, 1                                 // 000000009F34: D1C800E4 02052123
	v_add3_u32 v228, v35, v228, v231                           // 000000009F3C: D1FF00E4 079FC923
	v_cndmask_b32_e64 v33, v228, v230, s[78:79]                // 000000009F44: D1000021 013BCDE4
	v_and_or_b32 v184, v33, v229, v32                          // 000000009F4C: D20100B8 0483CB21
	v_mov_b32_e32 v34, v190                                    // 000000009F54: 7E4403BE
	v_mov_b32_e32 v35, v191                                    // 000000009F58: 7E4603BF
	v_cmp_u_f32_e64 s[78:79], v34, v34                         // 000000009F5C: D048004E 00024522
	v_bfe_u32 v228, v34, 16, 1                                 // 000000009F64: D1C800E4 02052122
	v_add3_u32 v228, v34, v228, v231                           // 000000009F6C: D1FF00E4 079FC922
	v_cndmask_b32_e64 v32, v228, v230, s[78:79]                // 000000009F74: D1000020 013BCDE4
	v_lshrrev_b32_e32 v32, 16, v32                             // 000000009F7C: 20404090
	v_cmp_u_f32_e64 s[78:79], v35, v35                         // 000000009F80: D048004E 00024723
	v_bfe_u32 v228, v35, 16, 1                                 // 000000009F88: D1C800E4 02052123
	v_add3_u32 v228, v35, v228, v231                           // 000000009F90: D1FF00E4 079FC923
	v_cndmask_b32_e64 v33, v228, v230, s[78:79]                // 000000009F98: D1000021 013BCDE4
	v_and_or_b32 v185, v33, v229, v32                          // 000000009FA0: D20100B9 0483CB21
	v_mov_b32_e32 v34, v192                                    // 000000009FA8: 7E4403C0
	v_mov_b32_e32 v35, v193                                    // 000000009FAC: 7E4603C1
	v_cmp_u_f32_e64 s[78:79], v34, v34                         // 000000009FB0: D048004E 00024522
	v_bfe_u32 v228, v34, 16, 1                                 // 000000009FB8: D1C800E4 02052122
	v_add3_u32 v228, v34, v228, v231                           // 000000009FC0: D1FF00E4 079FC922
	v_cndmask_b32_e64 v32, v228, v230, s[78:79]                // 000000009FC8: D1000020 013BCDE4
	v_lshrrev_b32_e32 v32, 16, v32                             // 000000009FD0: 20404090
	v_cmp_u_f32_e64 s[78:79], v35, v35                         // 000000009FD4: D048004E 00024723
	v_bfe_u32 v228, v35, 16, 1                                 // 000000009FDC: D1C800E4 02052123
	v_add3_u32 v228, v35, v228, v231                           // 000000009FE4: D1FF00E4 079FC923
	v_cndmask_b32_e64 v33, v228, v230, s[78:79]                // 000000009FEC: D1000021 013BCDE4
	v_and_or_b32 v186, v33, v229, v32                          // 000000009FF4: D20100BA 0483CB21
	v_mov_b32_e32 v34, v194                                    // 000000009FFC: 7E4403C2
	v_mov_b32_e32 v35, v195                                    // 00000000A000: 7E4603C3
	v_cmp_u_f32_e64 s[78:79], v34, v34                         // 00000000A004: D048004E 00024522
	v_bfe_u32 v228, v34, 16, 1                                 // 00000000A00C: D1C800E4 02052122
	v_add3_u32 v228, v34, v228, v231                           // 00000000A014: D1FF00E4 079FC922
	v_cndmask_b32_e64 v32, v228, v230, s[78:79]                // 00000000A01C: D1000020 013BCDE4
	v_lshrrev_b32_e32 v32, 16, v32                             // 00000000A024: 20404090
	v_cmp_u_f32_e64 s[78:79], v35, v35                         // 00000000A028: D048004E 00024723
	v_bfe_u32 v228, v35, 16, 1                                 // 00000000A030: D1C800E4 02052123
	v_add3_u32 v228, v35, v228, v231                           // 00000000A038: D1FF00E4 079FC923
	v_cndmask_b32_e64 v33, v228, v230, s[78:79]                // 00000000A040: D1000021 013BCDE4
	v_and_or_b32 v187, v33, v229, v32                          // 00000000A048: D20100BB 0483CB21
	ds_write_b64 v31, v[180:181]                               // 00000000A050: D89A0000 0000B41F
	ds_write_b64 v31, v[182:183] offset:544                    // 00000000A058: D89A0220 0000B61F
	ds_write_b64 v31, v[184:185] offset:1088                   // 00000000A060: D89A0440 0000B81F
	ds_write_b64 v31, v[186:187] offset:1632                   // 00000000A068: D89A0660 0000BA1F
	s_waitcnt lgkmcnt(0)                                       // 00000000A070: BF8CC07F
	s_barrier                                                  // 00000000A074: BF8A0000
	ds_read_b64 v[180:181], v30                                // 00000000A078: D8EC0000 B400001E
	ds_read_b64 v[182:183], v30 offset:128                     // 00000000A080: D8EC0080 B600001E
	ds_read_b64 v[184:185], v30 offset:64                      // 00000000A088: D8EC0040 B800001E
	ds_read_b64 v[186:187], v30 offset:192                     // 00000000A090: D8EC00C0 BA00001E
	s_waitcnt lgkmcnt(0)                                       // 00000000A098: BF8CC07F
	buffer_store_dwordx4 v[180:183], v14, s[40:43], 0 idxen    // 00000000A09C: E07C2000 800AB40E
	s_mul_i32 s60, 2, s46                                      // 00000000A0A4: 923C2E82
	v_add_u32_e32 v14, s60, v14                                // 00000000A0A8: 681C1C3C
	buffer_store_dwordx4 v[184:187], v14, s[40:43], 0 idxen    // 00000000A0AC: E07C2000 800AB80E
	s_mul_i32 s60, 2, s46                                      // 00000000A0B4: 923C2E82
	v_add_u32_e32 v14, s60, v14                                // 00000000A0B8: 681C1C3C
	s_mul_i32 s60, 12, s46                                     // 00000000A0BC: 923C2E8C
	v_add_u32_e32 v14, s60, v14                                // 00000000A0C0: 681C1C3C
	s_cmp_ge_i32 1, s72                                        // 00000000A0C4: BF034881
	s_cbranch_scc1 label_19C1                                  // 00000000A0C8: BF85018E
	v_mov_b32_e32 v34, v196                                    // 00000000A0CC: 7E4403C4
	v_mov_b32_e32 v35, v197                                    // 00000000A0D0: 7E4603C5
	v_cmp_u_f32_e64 s[78:79], v34, v34                         // 00000000A0D4: D048004E 00024522
	v_bfe_u32 v228, v34, 16, 1                                 // 00000000A0DC: D1C800E4 02052122
	v_add3_u32 v228, v34, v228, v231                           // 00000000A0E4: D1FF00E4 079FC922
	v_cndmask_b32_e64 v32, v228, v230, s[78:79]                // 00000000A0EC: D1000020 013BCDE4
	v_lshrrev_b32_e32 v32, 16, v32                             // 00000000A0F4: 20404090
	v_cmp_u_f32_e64 s[78:79], v35, v35                         // 00000000A0F8: D048004E 00024723
	v_bfe_u32 v228, v35, 16, 1                                 // 00000000A100: D1C800E4 02052123
	v_add3_u32 v228, v35, v228, v231                           // 00000000A108: D1FF00E4 079FC923
	v_cndmask_b32_e64 v33, v228, v230, s[78:79]                // 00000000A110: D1000021 013BCDE4
	v_and_or_b32 v188, v33, v229, v32                          // 00000000A118: D20100BC 0483CB21
	v_mov_b32_e32 v34, v198                                    // 00000000A120: 7E4403C6
	v_mov_b32_e32 v35, v199                                    // 00000000A124: 7E4603C7
	v_cmp_u_f32_e64 s[78:79], v34, v34                         // 00000000A128: D048004E 00024522
	v_bfe_u32 v228, v34, 16, 1                                 // 00000000A130: D1C800E4 02052122
	v_add3_u32 v228, v34, v228, v231                           // 00000000A138: D1FF00E4 079FC922
	v_cndmask_b32_e64 v32, v228, v230, s[78:79]                // 00000000A140: D1000020 013BCDE4
	v_lshrrev_b32_e32 v32, 16, v32                             // 00000000A148: 20404090
	v_cmp_u_f32_e64 s[78:79], v35, v35                         // 00000000A14C: D048004E 00024723
	v_bfe_u32 v228, v35, 16, 1                                 // 00000000A154: D1C800E4 02052123
	v_add3_u32 v228, v35, v228, v231                           // 00000000A15C: D1FF00E4 079FC923
	v_cndmask_b32_e64 v33, v228, v230, s[78:79]                // 00000000A164: D1000021 013BCDE4
	v_and_or_b32 v189, v33, v229, v32                          // 00000000A16C: D20100BD 0483CB21
	v_mov_b32_e32 v34, v200                                    // 00000000A174: 7E4403C8
	v_mov_b32_e32 v35, v201                                    // 00000000A178: 7E4603C9
	v_cmp_u_f32_e64 s[78:79], v34, v34                         // 00000000A17C: D048004E 00024522
	v_bfe_u32 v228, v34, 16, 1                                 // 00000000A184: D1C800E4 02052122
	v_add3_u32 v228, v34, v228, v231                           // 00000000A18C: D1FF00E4 079FC922
	v_cndmask_b32_e64 v32, v228, v230, s[78:79]                // 00000000A194: D1000020 013BCDE4
	v_lshrrev_b32_e32 v32, 16, v32                             // 00000000A19C: 20404090
	v_cmp_u_f32_e64 s[78:79], v35, v35                         // 00000000A1A0: D048004E 00024723
	v_bfe_u32 v228, v35, 16, 1                                 // 00000000A1A8: D1C800E4 02052123
	v_add3_u32 v228, v35, v228, v231                           // 00000000A1B0: D1FF00E4 079FC923
	v_cndmask_b32_e64 v33, v228, v230, s[78:79]                // 00000000A1B8: D1000021 013BCDE4
	v_and_or_b32 v190, v33, v229, v32                          // 00000000A1C0: D20100BE 0483CB21
	v_mov_b32_e32 v34, v202                                    // 00000000A1C8: 7E4403CA
	v_mov_b32_e32 v35, v203                                    // 00000000A1CC: 7E4603CB
	v_cmp_u_f32_e64 s[78:79], v34, v34                         // 00000000A1D0: D048004E 00024522
	v_bfe_u32 v228, v34, 16, 1                                 // 00000000A1D8: D1C800E4 02052122
	v_add3_u32 v228, v34, v228, v231                           // 00000000A1E0: D1FF00E4 079FC922
	v_cndmask_b32_e64 v32, v228, v230, s[78:79]                // 00000000A1E8: D1000020 013BCDE4
	v_lshrrev_b32_e32 v32, 16, v32                             // 00000000A1F0: 20404090
	v_cmp_u_f32_e64 s[78:79], v35, v35                         // 00000000A1F4: D048004E 00024723
	v_bfe_u32 v228, v35, 16, 1                                 // 00000000A1FC: D1C800E4 02052123
	v_add3_u32 v228, v35, v228, v231                           // 00000000A204: D1FF00E4 079FC923
	v_cndmask_b32_e64 v33, v228, v230, s[78:79]                // 00000000A20C: D1000021 013BCDE4
	v_and_or_b32 v191, v33, v229, v32                          // 00000000A214: D20100BF 0483CB21
	v_mov_b32_e32 v34, v204                                    // 00000000A21C: 7E4403CC
	v_mov_b32_e32 v35, v205                                    // 00000000A220: 7E4603CD
	v_cmp_u_f32_e64 s[78:79], v34, v34                         // 00000000A224: D048004E 00024522
	v_bfe_u32 v228, v34, 16, 1                                 // 00000000A22C: D1C800E4 02052122
	v_add3_u32 v228, v34, v228, v231                           // 00000000A234: D1FF00E4 079FC922
	v_cndmask_b32_e64 v32, v228, v230, s[78:79]                // 00000000A23C: D1000020 013BCDE4
	v_lshrrev_b32_e32 v32, 16, v32                             // 00000000A244: 20404090
	v_cmp_u_f32_e64 s[78:79], v35, v35                         // 00000000A248: D048004E 00024723
	v_bfe_u32 v228, v35, 16, 1                                 // 00000000A250: D1C800E4 02052123
	v_add3_u32 v228, v35, v228, v231                           // 00000000A258: D1FF00E4 079FC923
	v_cndmask_b32_e64 v33, v228, v230, s[78:79]                // 00000000A260: D1000021 013BCDE4
	v_and_or_b32 v192, v33, v229, v32                          // 00000000A268: D20100C0 0483CB21
	v_mov_b32_e32 v34, v206                                    // 00000000A270: 7E4403CE
	v_mov_b32_e32 v35, v207                                    // 00000000A274: 7E4603CF
	v_cmp_u_f32_e64 s[78:79], v34, v34                         // 00000000A278: D048004E 00024522
	v_bfe_u32 v228, v34, 16, 1                                 // 00000000A280: D1C800E4 02052122
	v_add3_u32 v228, v34, v228, v231                           // 00000000A288: D1FF00E4 079FC922
	v_cndmask_b32_e64 v32, v228, v230, s[78:79]                // 00000000A290: D1000020 013BCDE4
	v_lshrrev_b32_e32 v32, 16, v32                             // 00000000A298: 20404090
	v_cmp_u_f32_e64 s[78:79], v35, v35                         // 00000000A29C: D048004E 00024723
	v_bfe_u32 v228, v35, 16, 1                                 // 00000000A2A4: D1C800E4 02052123
	v_add3_u32 v228, v35, v228, v231                           // 00000000A2AC: D1FF00E4 079FC923
	v_cndmask_b32_e64 v33, v228, v230, s[78:79]                // 00000000A2B4: D1000021 013BCDE4
	v_and_or_b32 v193, v33, v229, v32                          // 00000000A2BC: D20100C1 0483CB21
	v_mov_b32_e32 v34, v208                                    // 00000000A2C4: 7E4403D0
	v_mov_b32_e32 v35, v209                                    // 00000000A2C8: 7E4603D1
	v_cmp_u_f32_e64 s[78:79], v34, v34                         // 00000000A2CC: D048004E 00024522
	v_bfe_u32 v228, v34, 16, 1                                 // 00000000A2D4: D1C800E4 02052122
	v_add3_u32 v228, v34, v228, v231                           // 00000000A2DC: D1FF00E4 079FC922
	v_cndmask_b32_e64 v32, v228, v230, s[78:79]                // 00000000A2E4: D1000020 013BCDE4
	v_lshrrev_b32_e32 v32, 16, v32                             // 00000000A2EC: 20404090
	v_cmp_u_f32_e64 s[78:79], v35, v35                         // 00000000A2F0: D048004E 00024723
	v_bfe_u32 v228, v35, 16, 1                                 // 00000000A2F8: D1C800E4 02052123
	v_add3_u32 v228, v35, v228, v231                           // 00000000A300: D1FF00E4 079FC923
	v_cndmask_b32_e64 v33, v228, v230, s[78:79]                // 00000000A308: D1000021 013BCDE4
	v_and_or_b32 v194, v33, v229, v32                          // 00000000A310: D20100C2 0483CB21
	v_mov_b32_e32 v34, v210                                    // 00000000A318: 7E4403D2
	v_mov_b32_e32 v35, v211                                    // 00000000A31C: 7E4603D3
	v_cmp_u_f32_e64 s[78:79], v34, v34                         // 00000000A320: D048004E 00024522
	v_bfe_u32 v228, v34, 16, 1                                 // 00000000A328: D1C800E4 02052122
	v_add3_u32 v228, v34, v228, v231                           // 00000000A330: D1FF00E4 079FC922
	v_cndmask_b32_e64 v32, v228, v230, s[78:79]                // 00000000A338: D1000020 013BCDE4
	v_lshrrev_b32_e32 v32, 16, v32                             // 00000000A340: 20404090
	v_cmp_u_f32_e64 s[78:79], v35, v35                         // 00000000A344: D048004E 00024723
	v_bfe_u32 v228, v35, 16, 1                                 // 00000000A34C: D1C800E4 02052123
	v_add3_u32 v228, v35, v228, v231                           // 00000000A354: D1FF00E4 079FC923
	v_cndmask_b32_e64 v33, v228, v230, s[78:79]                // 00000000A35C: D1000021 013BCDE4
	v_and_or_b32 v195, v33, v229, v32                          // 00000000A364: D20100C3 0483CB21
	ds_write_b64 v31, v[188:189] offset:8704                   // 00000000A36C: D89A2200 0000BC1F
	ds_write_b64 v31, v[190:191] offset:9248                   // 00000000A374: D89A2420 0000BE1F
	ds_write_b64 v31, v[192:193] offset:9792                   // 00000000A37C: D89A2640 0000C01F
	ds_write_b64 v31, v[194:195] offset:10336                  // 00000000A384: D89A2860 0000C21F
	s_waitcnt lgkmcnt(0)                                       // 00000000A38C: BF8CC07F
	s_barrier                                                  // 00000000A390: BF8A0000
	ds_read_b64 v[188:189], v30 offset:8704                    // 00000000A394: D8EC2200 BC00001E
	ds_read_b64 v[190:191], v30 offset:8832                    // 00000000A39C: D8EC2280 BE00001E
	ds_read_b64 v[192:193], v30 offset:8768                    // 00000000A3A4: D8EC2240 C000001E
	ds_read_b64 v[194:195], v30 offset:8896                    // 00000000A3AC: D8EC22C0 C200001E
	s_waitcnt lgkmcnt(0)                                       // 00000000A3B4: BF8CC07F
	buffer_store_dwordx4 v[188:191], v14, s[40:43], 0 idxen    // 00000000A3B8: E07C2000 800ABC0E
	s_mul_i32 s60, 2, s46                                      // 00000000A3C0: 923C2E82
	v_add_u32_e32 v14, s60, v14                                // 00000000A3C4: 681C1C3C
	buffer_store_dwordx4 v[192:195], v14, s[40:43], 0 idxen    // 00000000A3C8: E07C2000 800AC00E
	s_mul_i32 s60, 2, s46                                      // 00000000A3D0: 923C2E82
	v_add_u32_e32 v14, s60, v14                                // 00000000A3D4: 681C1C3C
	s_mul_i32 s60, 12, s46                                     // 00000000A3D8: 923C2E8C
	v_add_u32_e32 v14, s60, v14                                // 00000000A3DC: 681C1C3C
	s_cmp_ge_i32 2, s72                                        // 00000000A3E0: BF034882
	s_cbranch_scc1 label_19C1                                  // 00000000A3E4: BF8500C7
	v_mov_b32_e32 v34, v212                                    // 00000000A3E8: 7E4403D4
	v_mov_b32_e32 v35, v213                                    // 00000000A3EC: 7E4603D5
	v_cmp_u_f32_e64 s[78:79], v34, v34                         // 00000000A3F0: D048004E 00024522
	v_bfe_u32 v228, v34, 16, 1                                 // 00000000A3F8: D1C800E4 02052122
	v_add3_u32 v228, v34, v228, v231                           // 00000000A400: D1FF00E4 079FC922
	v_cndmask_b32_e64 v32, v228, v230, s[78:79]                // 00000000A408: D1000020 013BCDE4
	v_lshrrev_b32_e32 v32, 16, v32                             // 00000000A410: 20404090
	v_cmp_u_f32_e64 s[78:79], v35, v35                         // 00000000A414: D048004E 00024723
	v_bfe_u32 v228, v35, 16, 1                                 // 00000000A41C: D1C800E4 02052123
	v_add3_u32 v228, v35, v228, v231                           // 00000000A424: D1FF00E4 079FC923
	v_cndmask_b32_e64 v33, v228, v230, s[78:79]                // 00000000A42C: D1000021 013BCDE4
	v_and_or_b32 v196, v33, v229, v32                          // 00000000A434: D20100C4 0483CB21
	v_mov_b32_e32 v34, v214                                    // 00000000A43C: 7E4403D6
	v_mov_b32_e32 v35, v215                                    // 00000000A440: 7E4603D7
	v_cmp_u_f32_e64 s[78:79], v34, v34                         // 00000000A444: D048004E 00024522
	v_bfe_u32 v228, v34, 16, 1                                 // 00000000A44C: D1C800E4 02052122
	v_add3_u32 v228, v34, v228, v231                           // 00000000A454: D1FF00E4 079FC922
	v_cndmask_b32_e64 v32, v228, v230, s[78:79]                // 00000000A45C: D1000020 013BCDE4
	v_lshrrev_b32_e32 v32, 16, v32                             // 00000000A464: 20404090
	v_cmp_u_f32_e64 s[78:79], v35, v35                         // 00000000A468: D048004E 00024723
	v_bfe_u32 v228, v35, 16, 1                                 // 00000000A470: D1C800E4 02052123
	v_add3_u32 v228, v35, v228, v231                           // 00000000A478: D1FF00E4 079FC923
	v_cndmask_b32_e64 v33, v228, v230, s[78:79]                // 00000000A480: D1000021 013BCDE4
	v_and_or_b32 v197, v33, v229, v32                          // 00000000A488: D20100C5 0483CB21
	v_mov_b32_e32 v34, v216                                    // 00000000A490: 7E4403D8
	v_mov_b32_e32 v35, v217                                    // 00000000A494: 7E4603D9
	v_cmp_u_f32_e64 s[78:79], v34, v34                         // 00000000A498: D048004E 00024522
	v_bfe_u32 v228, v34, 16, 1                                 // 00000000A4A0: D1C800E4 02052122
	v_add3_u32 v228, v34, v228, v231                           // 00000000A4A8: D1FF00E4 079FC922
	v_cndmask_b32_e64 v32, v228, v230, s[78:79]                // 00000000A4B0: D1000020 013BCDE4
	v_lshrrev_b32_e32 v32, 16, v32                             // 00000000A4B8: 20404090
	v_cmp_u_f32_e64 s[78:79], v35, v35                         // 00000000A4BC: D048004E 00024723
	v_bfe_u32 v228, v35, 16, 1                                 // 00000000A4C4: D1C800E4 02052123
	v_add3_u32 v228, v35, v228, v231                           // 00000000A4CC: D1FF00E4 079FC923
	v_cndmask_b32_e64 v33, v228, v230, s[78:79]                // 00000000A4D4: D1000021 013BCDE4
	v_and_or_b32 v198, v33, v229, v32                          // 00000000A4DC: D20100C6 0483CB21
	v_mov_b32_e32 v34, v218                                    // 00000000A4E4: 7E4403DA
	v_mov_b32_e32 v35, v219                                    // 00000000A4E8: 7E4603DB
	v_cmp_u_f32_e64 s[78:79], v34, v34                         // 00000000A4EC: D048004E 00024522
	v_bfe_u32 v228, v34, 16, 1                                 // 00000000A4F4: D1C800E4 02052122
	v_add3_u32 v228, v34, v228, v231                           // 00000000A4FC: D1FF00E4 079FC922
	v_cndmask_b32_e64 v32, v228, v230, s[78:79]                // 00000000A504: D1000020 013BCDE4
	v_lshrrev_b32_e32 v32, 16, v32                             // 00000000A50C: 20404090
	v_cmp_u_f32_e64 s[78:79], v35, v35                         // 00000000A510: D048004E 00024723
	v_bfe_u32 v228, v35, 16, 1                                 // 00000000A518: D1C800E4 02052123
	v_add3_u32 v228, v35, v228, v231                           // 00000000A520: D1FF00E4 079FC923
	v_cndmask_b32_e64 v33, v228, v230, s[78:79]                // 00000000A528: D1000021 013BCDE4
	v_and_or_b32 v199, v33, v229, v32                          // 00000000A530: D20100C7 0483CB21
	v_mov_b32_e32 v34, v220                                    // 00000000A538: 7E4403DC
	v_mov_b32_e32 v35, v221                                    // 00000000A53C: 7E4603DD
	v_cmp_u_f32_e64 s[78:79], v34, v34                         // 00000000A540: D048004E 00024522
	v_bfe_u32 v228, v34, 16, 1                                 // 00000000A548: D1C800E4 02052122
	v_add3_u32 v228, v34, v228, v231                           // 00000000A550: D1FF00E4 079FC922
	v_cndmask_b32_e64 v32, v228, v230, s[78:79]                // 00000000A558: D1000020 013BCDE4
	v_lshrrev_b32_e32 v32, 16, v32                             // 00000000A560: 20404090
	v_cmp_u_f32_e64 s[78:79], v35, v35                         // 00000000A564: D048004E 00024723
	v_bfe_u32 v228, v35, 16, 1                                 // 00000000A56C: D1C800E4 02052123
	v_add3_u32 v228, v35, v228, v231                           // 00000000A574: D1FF00E4 079FC923
	v_cndmask_b32_e64 v33, v228, v230, s[78:79]                // 00000000A57C: D1000021 013BCDE4
	v_and_or_b32 v200, v33, v229, v32                          // 00000000A584: D20100C8 0483CB21
	v_mov_b32_e32 v34, v222                                    // 00000000A58C: 7E4403DE
	v_mov_b32_e32 v35, v223                                    // 00000000A590: 7E4603DF
	v_cmp_u_f32_e64 s[78:79], v34, v34                         // 00000000A594: D048004E 00024522
	v_bfe_u32 v228, v34, 16, 1                                 // 00000000A59C: D1C800E4 02052122
	v_add3_u32 v228, v34, v228, v231                           // 00000000A5A4: D1FF00E4 079FC922
	v_cndmask_b32_e64 v32, v228, v230, s[78:79]                // 00000000A5AC: D1000020 013BCDE4
	v_lshrrev_b32_e32 v32, 16, v32                             // 00000000A5B4: 20404090
	v_cmp_u_f32_e64 s[78:79], v35, v35                         // 00000000A5B8: D048004E 00024723
	v_bfe_u32 v228, v35, 16, 1                                 // 00000000A5C0: D1C800E4 02052123
	v_add3_u32 v228, v35, v228, v231                           // 00000000A5C8: D1FF00E4 079FC923
	v_cndmask_b32_e64 v33, v228, v230, s[78:79]                // 00000000A5D0: D1000021 013BCDE4
	v_and_or_b32 v201, v33, v229, v32                          // 00000000A5D8: D20100C9 0483CB21
	v_mov_b32_e32 v34, v224                                    // 00000000A5E0: 7E4403E0
	v_mov_b32_e32 v35, v225                                    // 00000000A5E4: 7E4603E1
	v_cmp_u_f32_e64 s[78:79], v34, v34                         // 00000000A5E8: D048004E 00024522
	v_bfe_u32 v228, v34, 16, 1                                 // 00000000A5F0: D1C800E4 02052122
	v_add3_u32 v228, v34, v228, v231                           // 00000000A5F8: D1FF00E4 079FC922
	v_cndmask_b32_e64 v32, v228, v230, s[78:79]                // 00000000A600: D1000020 013BCDE4
	v_lshrrev_b32_e32 v32, 16, v32                             // 00000000A608: 20404090
	v_cmp_u_f32_e64 s[78:79], v35, v35                         // 00000000A60C: D048004E 00024723
	v_bfe_u32 v228, v35, 16, 1                                 // 00000000A614: D1C800E4 02052123
	v_add3_u32 v228, v35, v228, v231                           // 00000000A61C: D1FF00E4 079FC923
	v_cndmask_b32_e64 v33, v228, v230, s[78:79]                // 00000000A624: D1000021 013BCDE4
	v_and_or_b32 v202, v33, v229, v32                          // 00000000A62C: D20100CA 0483CB21
	v_mov_b32_e32 v34, v226                                    // 00000000A634: 7E4403E2
	v_mov_b32_e32 v35, v227                                    // 00000000A638: 7E4603E3
	v_cmp_u_f32_e64 s[78:79], v34, v34                         // 00000000A63C: D048004E 00024522
	v_bfe_u32 v228, v34, 16, 1                                 // 00000000A644: D1C800E4 02052122
	v_add3_u32 v228, v34, v228, v231                           // 00000000A64C: D1FF00E4 079FC922
	v_cndmask_b32_e64 v32, v228, v230, s[78:79]                // 00000000A654: D1000020 013BCDE4
	v_lshrrev_b32_e32 v32, 16, v32                             // 00000000A65C: 20404090
	v_cmp_u_f32_e64 s[78:79], v35, v35                         // 00000000A660: D048004E 00024723
	v_bfe_u32 v228, v35, 16, 1                                 // 00000000A668: D1C800E4 02052123
	v_add3_u32 v228, v35, v228, v231                           // 00000000A670: D1FF00E4 079FC923
	v_cndmask_b32_e64 v33, v228, v230, s[78:79]                // 00000000A678: D1000021 013BCDE4
	v_and_or_b32 v203, v33, v229, v32                          // 00000000A680: D20100CB 0483CB21
	ds_write_b64 v31, v[196:197] offset:17408                  // 00000000A688: D89A4400 0000C41F
	ds_write_b64 v31, v[198:199] offset:17952                  // 00000000A690: D89A4620 0000C61F
	ds_write_b64 v31, v[200:201] offset:18496                  // 00000000A698: D89A4840 0000C81F
	ds_write_b64 v31, v[202:203] offset:19040                  // 00000000A6A0: D89A4A60 0000CA1F
	s_waitcnt lgkmcnt(0)                                       // 00000000A6A8: BF8CC07F
	s_barrier                                                  // 00000000A6AC: BF8A0000
	ds_read_b64 v[196:197], v30 offset:17408                   // 00000000A6B0: D8EC4400 C400001E
	ds_read_b64 v[198:199], v30 offset:17536                   // 00000000A6B8: D8EC4480 C600001E
	ds_read_b64 v[200:201], v30 offset:17472                   // 00000000A6C0: D8EC4440 C800001E
	ds_read_b64 v[202:203], v30 offset:17600                   // 00000000A6C8: D8EC44C0 CA00001E
	s_waitcnt lgkmcnt(0)                                       // 00000000A6D0: BF8CC07F
	buffer_store_dwordx4 v[196:199], v14, s[40:43], 0 idxen    // 00000000A6D4: E07C2000 800AC40E
	s_mul_i32 s60, 2, s46                                      // 00000000A6DC: 923C2E82
	v_add_u32_e32 v14, s60, v14                                // 00000000A6E0: 681C1C3C
	buffer_store_dwordx4 v[200:203], v14, s[40:43], 0 idxen    // 00000000A6E4: E07C2000 800AC80E
	s_mul_i32 s60, 2, s46                                      // 00000000A6EC: 923C2E82
	v_add_u32_e32 v14, s60, v14                                // 00000000A6F0: 681C1C3C
	s_mul_i32 s60, 12, s46                                     // 00000000A6F4: 923C2E8C
	v_add_u32_e32 v14, s60, v14                                // 00000000A6F8: 681C1C3C
	s_cmp_ge_i32 3, s72                                        // 00000000A6FC: BF034883
	s_cbranch_scc1 label_19C1                                  // 00000000A700: BF850000

000000000000a704 <label_19C1>:
	s_waitcnt vmcnt(0) expcnt(0) lgkmcnt(0)                    // 00000000A704: BF8C0000
	s_mov_b32 s32, s90                                         // 00000000A708: BEA0005A
	s_mov_b32 s33, s91                                         // 00000000A70C: BEA1005B
	s_sub_i32 s60, s77, 1                                      // 00000000A710: 81BC814D
	s_sub_i32 s2, s60, s2                                      // 00000000A714: 8182023C
	s_addk_i32 s75, 0x1                                        // 00000000A718: B74B0001
	s_cmp_lt_i32 s75, s76                                      // 00000000A71C: BF044C4B
	s_cbranch_scc1 label_00F7                                  // 00000000A720: BF85E72E
	s_endpgm                                                   // 00000000A724: BF810000
